;; amdgpu-corpus repo=ROCm/rocFFT kind=compiled arch=gfx1201 opt=O3
	.text
	.amdgcn_target "amdgcn-amd-amdhsa--gfx1201"
	.amdhsa_code_object_version 6
	.protected	bluestein_single_fwd_len432_dim1_sp_op_CI_CI ; -- Begin function bluestein_single_fwd_len432_dim1_sp_op_CI_CI
	.globl	bluestein_single_fwd_len432_dim1_sp_op_CI_CI
	.p2align	8
	.type	bluestein_single_fwd_len432_dim1_sp_op_CI_CI,@function
bluestein_single_fwd_len432_dim1_sp_op_CI_CI: ; @bluestein_single_fwd_len432_dim1_sp_op_CI_CI
; %bb.0:
	s_load_b128 s[8:11], s[0:1], 0x28
	v_mul_u32_u24_e32 v1, 0x97c, v0
	v_mov_b32_e32 v115, 0
	s_mov_b32 s2, exec_lo
	s_delay_alu instid0(VALU_DEP_2) | instskip(NEXT) | instid1(VALU_DEP_1)
	v_lshrrev_b32_e32 v2, 16, v1
	v_lshl_add_u32 v114, ttmp9, 1, v2
	s_wait_kmcnt 0x0
	s_delay_alu instid0(VALU_DEP_1)
	v_cmpx_gt_u64_e64 s[8:9], v[114:115]
	s_cbranch_execz .LBB0_31
; %bb.1:
	s_clause 0x1
	s_load_b128 s[4:7], s[0:1], 0x18
	s_load_b64 s[16:17], s[0:1], 0x0
	v_mul_lo_u16 v1, v2, 27
	s_movk_i32 s2, 0xfefb
	s_mov_b32 s3, -1
	s_load_b64 s[8:9], s[0:1], 0x38
	s_delay_alu instid0(VALU_DEP_1)
	v_sub_nc_u16 v39, v0, v1
	s_wait_kmcnt 0x0
	s_load_b128 s[12:15], s[4:5], 0x0
	s_wait_kmcnt 0x0
	v_mad_co_u64_u32 v[0:1], null, s14, v114, 0
	s_mul_u64 s[4:5], s[12:13], 0x90
	s_mul_u64 s[2:3], s[12:13], s[2:3]
	s_delay_alu instid0(SALU_CYCLE_1) | instskip(NEXT) | instid1(VALU_DEP_1)
	s_lshl_b64 s[2:3], s[2:3], 3
	v_mad_co_u64_u32 v[7:8], null, s15, v114, v[1:2]
	s_delay_alu instid0(VALU_DEP_1) | instskip(NEXT) | instid1(VALU_DEP_1)
	v_dual_mov_b32 v1, v7 :: v_dual_and_b32 v152, 0xffff, v39
	v_or_b32_e32 v153, 0x120, v152
	v_mad_co_u64_u32 v[3:4], null, s12, v152, 0
	s_delay_alu instid0(VALU_DEP_3) | instskip(NEXT) | instid1(VALU_DEP_3)
	v_lshlrev_b64_e32 v[0:1], 3, v[0:1]
	v_mad_co_u64_u32 v[5:6], null, s12, v153, 0
	s_delay_alu instid0(VALU_DEP_1) | instskip(SKIP_1) | instid1(VALU_DEP_3)
	v_mad_co_u64_u32 v[8:9], null, s13, v152, v[4:5]
	v_lshlrev_b32_e32 v163, 3, v152
	v_mad_co_u64_u32 v[6:7], null, s13, v153, v[6:7]
	v_add_co_u32 v9, vcc_lo, s10, v0
	v_add_co_ci_u32_e32 v10, vcc_lo, s11, v1, vcc_lo
	v_mov_b32_e32 v4, v8
	s_lshl_b64 s[10:11], s[4:5], 3
	s_delay_alu instid0(VALU_DEP_4)
	v_lshlrev_b64_e32 v[5:6], 3, v[5:6]
	s_clause 0x8
	global_load_b64 v[139:140], v163, s[16:17] offset:2304
	global_load_b64 v[125:126], v163, s[16:17] offset:2520
	;; [unrolled: 1-line block ×4, first 2 shown]
	global_load_b64 v[143:144], v163, s[16:17]
	global_load_b64 v[141:142], v163, s[16:17] offset:216
	global_load_b64 v[131:132], v163, s[16:17] offset:432
	;; [unrolled: 1-line block ×4, first 2 shown]
	v_lshlrev_b64_e32 v[3:4], 3, v[3:4]
	s_clause 0x3
	global_load_b64 v[137:138], v163, s[16:17] offset:2736
	global_load_b64 v[119:120], v163, s[16:17] offset:2952
	;; [unrolled: 1-line block ×4, first 2 shown]
	s_mul_i32 s4, s13, 0xfffffc58
	s_delay_alu instid0(SALU_CYCLE_1) | instskip(SKIP_4) | instid1(VALU_DEP_2)
	s_sub_co_i32 s4, s4, s12
	v_add_co_u32 v0, vcc_lo, v9, v3
	s_wait_alu 0xfffd
	v_add_co_ci_u32_e32 v1, vcc_lo, v10, v4, vcc_lo
	s_wait_alu 0xfffe
	v_add_co_u32 v3, vcc_lo, v0, s10
	s_wait_alu 0xfffd
	s_delay_alu instid0(VALU_DEP_2) | instskip(SKIP_3) | instid1(VALU_DEP_3)
	v_add_co_ci_u32_e32 v4, vcc_lo, s11, v1, vcc_lo
	v_add_co_u32 v5, vcc_lo, v9, v5
	s_wait_alu 0xfffd
	v_add_co_ci_u32_e32 v6, vcc_lo, v10, v6, vcc_lo
	v_mad_co_u64_u32 v[7:8], null, 0xfffffc58, s12, v[3:4]
	s_clause 0x2
	global_load_b64 v[9:10], v[0:1], off
	global_load_b64 v[3:4], v[3:4], off
	;; [unrolled: 1-line block ×3, first 2 shown]
	v_and_b32_e32 v2, 1, v2
	v_add_co_u32 v115, s12, s16, v163
	s_wait_alu 0xf1ff
	v_add_co_ci_u32_e64 v116, null, s17, 0, s12
	v_add_nc_u32_e32 v8, s4, v8
	v_add_co_u32 v0, vcc_lo, v7, s10
	s_wait_loadcnt 0x1
	v_mul_f32_e32 v35, v4, v146
	s_wait_alu 0xfffd
	v_add_co_ci_u32_e32 v1, vcc_lo, s11, v8, vcc_lo
	global_load_b64 v[11:12], v[7:8], off
	v_mul_f32_e32 v36, v3, v146
	v_fmac_f32_e32 v35, v3, v145
	global_load_b64 v[13:14], v[0:1], off
	v_add_co_u32 v7, vcc_lo, v0, s10
	s_wait_alu 0xfffd
	v_add_co_ci_u32_e32 v8, vcc_lo, s11, v1, vcc_lo
	s_wait_loadcnt 0x2
	v_mul_f32_e32 v38, v5, v140
	v_add_co_u32 v0, vcc_lo, v7, s2
	s_wait_alu 0xfffd
	v_add_co_ci_u32_e32 v1, vcc_lo, s3, v8, vcc_lo
	global_load_b64 v[15:16], v[7:8], off
	v_add_co_u32 v7, vcc_lo, v0, s10
	s_wait_alu 0xfffd
	v_add_co_ci_u32_e32 v8, vcc_lo, s11, v1, vcc_lo
	global_load_b64 v[17:18], v[0:1], off
	;; [unrolled: 4-line block ×8, first 2 shown]
	v_add_co_u32 v0, vcc_lo, v7, s10
	s_wait_alu 0xfffd
	v_add_co_ci_u32_e32 v1, vcc_lo, s11, v8, vcc_lo
	global_load_b64 v[133:134], v163, s[16:17] offset:2016
	global_load_b64 v[31:32], v[7:8], off
	global_load_b64 v[135:136], v163, s[16:17] offset:3168
	global_load_b64 v[33:34], v[0:1], off
	v_mul_f32_e32 v7, v9, v144
	v_cmp_eq_u32_e32 vcc_lo, 1, v2
	s_load_b128 s[4:7], s[6:7], 0x0
	v_mul_f32_e32 v37, v6, v140
	v_mul_f32_e32 v2, v10, v144
	v_fma_f32 v36, v4, v145, -v36
	v_cndmask_b32_e64 v168, 0, 0x1b0, vcc_lo
	v_fma_f32 v3, v10, v143, -v7
	v_fmac_f32_e32 v37, v5, v139
	v_fmac_f32_e32 v2, v9, v143
	v_cmp_gt_u16_e32 vcc_lo, 9, v39
	v_lshlrev_b32_e32 v154, 3, v168
	s_delay_alu instid0(VALU_DEP_1) | instskip(NEXT) | instid1(VALU_DEP_1)
	v_add_nc_u32_e32 v151, v154, v163
	v_add_nc_u32_e32 v8, 0x800, v151
	s_wait_loadcnt 0xd
	v_mul_f32_e32 v4, v12, v142
	v_mul_f32_e32 v5, v11, v142
	v_fma_f32 v38, v6, v139, -v38
	s_wait_loadcnt 0xc
	v_mul_f32_e32 v7, v13, v128
	ds_store_b64 v151, v[35:36] offset:1152
	ds_store_b64 v151, v[37:38] offset:2304
	v_fmac_f32_e32 v4, v11, v141
	v_fma_f32 v5, v12, v141, -v5
	v_fma_f32 v7, v14, v127, -v7
	s_wait_loadcnt 0xb
	v_dual_mul_f32 v9, v16, v126 :: v_dual_mul_f32 v6, v14, v128
	ds_store_2addr_b64 v151, v[2:3], v[4:5] offset1:27
	v_dual_fmac_f32 v9, v15, v125 :: v_dual_fmac_f32 v6, v13, v127
	s_wait_loadcnt 0xa
	v_mul_f32_e32 v2, v18, v132
	v_mul_f32_e32 v3, v17, v132
	s_wait_loadcnt 0x9
	v_mul_f32_e32 v4, v20, v124
	v_mul_f32_e32 v5, v19, v124
	s_delay_alu instid0(VALU_DEP_3)
	v_fma_f32 v3, v18, v131, -v3
	s_wait_loadcnt 0x8
	v_mul_f32_e32 v11, v22, v138
	v_mul_f32_e32 v10, v15, v126
	v_fmac_f32_e32 v4, v19, v123
	v_fma_f32 v5, v20, v123, -v5
	s_wait_loadcnt 0x7
	v_mul_f32_e32 v13, v24, v130
	v_mul_f32_e32 v12, v21, v138
	v_fmac_f32_e32 v11, v21, v137
	v_fma_f32 v10, v16, v125, -v10
	s_delay_alu instid0(VALU_DEP_4) | instskip(NEXT) | instid1(VALU_DEP_4)
	v_dual_fmac_f32 v2, v17, v131 :: v_dual_fmac_f32 v13, v23, v129
	v_fma_f32 v12, v22, v137, -v12
	ds_store_2addr_b64 v151, v[6:7], v[4:5] offset0:171 offset1:198
	ds_store_2addr_b64 v8, v[9:10], v[11:12] offset0:59 offset1:86
	s_wait_loadcnt 0x5
	v_mul_f32_e32 v7, v27, v120
	v_dual_mul_f32 v6, v28, v120 :: v_dual_mul_f32 v5, v25, v118
	s_wait_loadcnt 0x4
	v_mul_f32_e32 v9, v30, v122
	v_mul_f32_e32 v14, v23, v130
	s_wait_loadcnt 0x2
	v_dual_fmac_f32 v6, v27, v119 :: v_dual_mul_f32 v11, v32, v134
	v_mul_f32_e32 v4, v26, v118
	s_wait_loadcnt 0x0
	v_dual_mul_f32 v10, v29, v122 :: v_dual_mul_f32 v15, v34, v136
	v_mul_f32_e32 v12, v31, v134
	v_fmac_f32_e32 v11, v31, v133
	v_fmac_f32_e32 v4, v25, v117
	v_mul_f32_e32 v16, v33, v136
	v_fmac_f32_e32 v9, v29, v121
	v_fma_f32 v14, v24, v129, -v14
	v_fma_f32 v10, v30, v121, -v10
	;; [unrolled: 1-line block ×3, first 2 shown]
	v_fmac_f32_e32 v15, v33, v135
	v_fma_f32 v12, v32, v133, -v12
	v_fma_f32 v7, v28, v119, -v7
	;; [unrolled: 1-line block ×3, first 2 shown]
	ds_store_2addr_b64 v151, v[2:3], v[13:14] offset0:54 offset1:81
	ds_store_b64 v151, v[9:10] offset:864
	ds_store_2addr_b64 v151, v[4:5], v[11:12] offset0:225 offset1:252
	ds_store_2addr_b64 v8, v[6:7], v[15:16] offset0:113 offset1:140
	s_and_saveexec_b32 s12, vcc_lo
	s_cbranch_execz .LBB0_3
; %bb.2:
	v_add_co_u32 v0, s2, v0, s2
	s_wait_alu 0xf1ff
	v_add_co_ci_u32_e64 v1, s2, s3, v1, s2
	global_load_b64 v[4:5], v[115:116], off offset:1080
	global_load_b64 v[2:3], v[0:1], off
	v_add_co_u32 v0, s2, v0, s10
	s_wait_alu 0xf1ff
	v_add_co_ci_u32_e64 v1, s2, s11, v1, s2
	v_add_nc_u32_e32 v15, 0x400, v151
	s_delay_alu instid0(VALU_DEP_3) | instskip(SKIP_1) | instid1(VALU_DEP_3)
	v_add_co_u32 v6, s2, v0, s10
	s_wait_alu 0xf1ff
	v_add_co_ci_u32_e64 v7, s2, s11, v1, s2
	global_load_b64 v[0:1], v[0:1], off
	s_clause 0x1
	global_load_b64 v[9:10], v[115:116], off offset:2232
	global_load_b64 v[11:12], v[115:116], off offset:3384
	global_load_b64 v[6:7], v[6:7], off
	s_wait_loadcnt 0x4
	v_mul_f32_e32 v14, v2, v5
	v_mul_f32_e32 v13, v3, v5
	s_delay_alu instid0(VALU_DEP_2) | instskip(SKIP_1) | instid1(VALU_DEP_2)
	v_fma_f32 v14, v3, v4, -v14
	s_wait_loadcnt 0x2
	v_dual_fmac_f32 v13, v2, v4 :: v_dual_mul_f32 v2, v1, v10
	s_wait_loadcnt 0x0
	v_dual_mul_f32 v10, v0, v10 :: v_dual_mul_f32 v5, v7, v12
	v_mul_f32_e32 v12, v6, v12
	s_delay_alu instid0(VALU_DEP_3) | instskip(NEXT) | instid1(VALU_DEP_3)
	v_fmac_f32_e32 v2, v0, v9
	v_fma_f32 v3, v1, v9, -v10
	s_delay_alu instid0(VALU_DEP_4) | instskip(NEXT) | instid1(VALU_DEP_4)
	v_fmac_f32_e32 v5, v6, v11
	v_fma_f32 v6, v7, v11, -v12
	ds_store_2addr_b64 v15, v[13:14], v[2:3] offset0:7 offset1:151
	ds_store_b64 v151, v[5:6] offset:3384
.LBB0_3:
	s_wait_alu 0xfffe
	s_or_b32 exec_lo, exec_lo, s12
	global_wb scope:SCOPE_SE
	s_wait_dscnt 0x0
	s_wait_kmcnt 0x0
	s_barrier_signal -1
	s_barrier_wait -1
	global_inv scope:SCOPE_SE
	ds_load_2addr_b64 v[12:15], v151 offset1:27
	ds_load_2addr_b64 v[0:3], v151 offset0:108 offset1:144
	ds_load_2addr_b64 v[28:31], v8 offset0:32 offset1:59
	;; [unrolled: 1-line block ×6, first 2 shown]
	ds_load_b64 v[34:35], v151 offset:3168
                                        ; implicit-def: $vgpr8
                                        ; implicit-def: $vgpr32
	s_and_saveexec_b32 s2, vcc_lo
	s_cbranch_execz .LBB0_5
; %bb.4:
	v_add_nc_u32_e32 v8, 0x400, v151
	ds_load_2addr_b64 v[8:11], v8 offset0:7 offset1:151
	ds_load_b64 v[32:33], v151 offset:3384
.LBB0_5:
	s_wait_alu 0xfffe
	s_or_b32 exec_lo, exec_lo, s2
	s_load_b64 s[2:3], s[0:1], 0x8
	v_add_co_u32 v174, s0, v152, 27
	s_wait_dscnt 0x5
	v_add_f32_e32 v36, v2, v28
	s_wait_alu 0xf1ff
	v_add_co_ci_u32_e64 v40, null, 0, 0, s0
	v_add_co_u32 v172, s0, 0x51, v152
	s_wait_alu 0xf1ff
	v_add_co_ci_u32_e64 v37, null, 0, 0, s0
	v_add_f32_e32 v37, v12, v2
	v_fma_f32 v12, -0.5, v36, v12
	v_dual_sub_f32 v39, v3, v29 :: v_dual_sub_f32 v2, v2, v28
	s_wait_dscnt 0x0
	s_delay_alu instid0(VALU_DEP_3) | instskip(SKIP_1) | instid1(VALU_DEP_3)
	v_dual_add_f32 v41, v19, v35 :: v_dual_add_f32 v36, v37, v28
	v_add_f32_e32 v37, v3, v29
	v_dual_fmamk_f32 v38, v39, 0x3f5db3d7, v12 :: v_dual_add_f32 v3, v13, v3
	v_dual_fmac_f32 v12, 0xbf5db3d7, v39 :: v_dual_add_f32 v39, v24, v30
	s_delay_alu instid0(VALU_DEP_3) | instskip(SKIP_1) | instid1(VALU_DEP_4)
	v_fma_f32 v13, -0.5, v37, v13
	v_add_co_u32 v173, null, v152, 54
	v_add_f32_e32 v37, v3, v29
	v_sub_f32_e32 v29, v25, v31
	v_add_f32_e32 v3, v14, v24
	v_fma_f32 v14, -0.5, v39, v14
	v_dual_fmamk_f32 v39, v2, 0xbf5db3d7, v13 :: v_dual_sub_f32 v24, v24, v30
	v_fmac_f32_e32 v13, 0x3f5db3d7, v2
	v_add_co_u32 v171, null, 0x6c, v152
	s_delay_alu instid0(VALU_DEP_4)
	v_fmamk_f32 v28, v29, 0x3f5db3d7, v14
	v_fmac_f32_e32 v14, 0xbf5db3d7, v29
	v_dual_add_f32 v2, v3, v30 :: v_dual_add_f32 v3, v25, v31
	v_add_f32_e32 v25, v15, v25
	v_add_f32_e32 v29, v26, v20
	v_add_co_u32 v169, s0, 0x87, v152
	s_delay_alu instid0(VALU_DEP_4) | instskip(NEXT) | instid1(VALU_DEP_4)
	v_fmac_f32_e32 v15, -0.5, v3
	v_add_f32_e32 v3, v25, v31
	v_add_f32_e32 v25, v4, v26
	v_fma_f32 v4, -0.5, v29, v4
	v_sub_f32_e32 v31, v27, v21
	v_fmamk_f32 v29, v24, 0xbf5db3d7, v15
	v_fmac_f32_e32 v15, 0x3f5db3d7, v24
	v_dual_add_f32 v24, v25, v20 :: v_dual_add_f32 v25, v27, v21
	s_delay_alu instid0(VALU_DEP_4) | instskip(SKIP_1) | instid1(VALU_DEP_3)
	v_dual_add_f32 v27, v5, v27 :: v_dual_fmamk_f32 v30, v31, 0x3f5db3d7, v4
	v_dual_fmac_f32 v4, 0xbf5db3d7, v31 :: v_dual_add_f32 v31, v16, v22
	v_fma_f32 v5, -0.5, v25, v5
	s_delay_alu instid0(VALU_DEP_3) | instskip(SKIP_1) | instid1(VALU_DEP_4)
	v_dual_sub_f32 v20, v26, v20 :: v_dual_add_f32 v25, v27, v21
	v_add_f32_e32 v21, v6, v16
	v_fma_f32 v6, -0.5, v31, v6
	v_sub_f32_e32 v27, v17, v23
	s_delay_alu instid0(VALU_DEP_4) | instskip(NEXT) | instid1(VALU_DEP_4)
	v_fmamk_f32 v31, v20, 0xbf5db3d7, v5
	v_dual_fmac_f32 v5, 0x3f5db3d7, v20 :: v_dual_add_f32 v20, v21, v22
	v_add_f32_e32 v21, v17, v23
	v_add_f32_e32 v17, v7, v17
	v_fmamk_f32 v26, v27, 0x3f5db3d7, v6
	v_dual_fmac_f32 v6, 0xbf5db3d7, v27 :: v_dual_add_f32 v27, v18, v34
	s_delay_alu instid0(VALU_DEP_4) | instskip(NEXT) | instid1(VALU_DEP_4)
	v_dual_fmac_f32 v7, -0.5, v21 :: v_dual_sub_f32 v16, v16, v22
	v_add_f32_e32 v21, v17, v23
	v_add_f32_e32 v17, v0, v18
	s_delay_alu instid0(VALU_DEP_4) | instskip(SKIP_2) | instid1(VALU_DEP_4)
	v_fma_f32 v0, -0.5, v27, v0
	v_sub_f32_e32 v23, v19, v35
	v_fmamk_f32 v27, v16, 0xbf5db3d7, v7
	v_dual_fmac_f32 v7, 0x3f5db3d7, v16 :: v_dual_add_f32 v16, v17, v34
	v_add_f32_e32 v17, v1, v19
	v_dual_fmac_f32 v1, -0.5, v41 :: v_dual_sub_f32 v18, v18, v34
	v_dual_fmamk_f32 v22, v23, 0x3f5db3d7, v0 :: v_dual_add_f32 v19, v10, v32
	s_delay_alu instid0(VALU_DEP_3) | instskip(SKIP_1) | instid1(VALU_DEP_4)
	v_add_f32_e32 v17, v17, v35
	v_mul_lo_u16 v35, v152, 3
	v_dual_fmac_f32 v0, 0xbf5db3d7, v23 :: v_dual_fmamk_f32 v23, v18, 0xbf5db3d7, v1
	v_dual_fmac_f32 v1, 0x3f5db3d7, v18 :: v_dual_add_f32 v34, v11, v33
	s_delay_alu instid0(VALU_DEP_3)
	v_and_b32_e32 v18, 0xffff, v35
	v_fma_f32 v84, -0.5, v19, v8
	v_sub_f32_e32 v19, v11, v33
	global_wb scope:SCOPE_SE
	v_fma_f32 v85, -0.5, v34, v9
	v_lshl_add_u32 v158, v18, 3, v154
	v_sub_f32_e32 v34, v10, v32
	v_fmamk_f32 v78, v19, 0x3f5db3d7, v84
	v_fmac_f32_e32 v84, 0xbf5db3d7, v19
	v_mul_u32_u24_e32 v19, 3, v174
	s_wait_kmcnt 0x0
	s_barrier_signal -1
	s_barrier_wait -1
	global_inv scope:SCOPE_SE
	v_mul_u32_u24_e32 v18, 3, v173
	ds_store_2addr_b64 v158, v[36:37], v[38:39] offset1:1
	ds_store_b64 v158, v[12:13] offset:16
	v_mul_u32_u24_e32 v12, 3, v172
	v_mul_u32_u24_e32 v13, 3, v171
	s_wait_alu 0xf1ff
	v_add_co_ci_u32_e64 v170, null, 0, 0, s0
	v_fmamk_f32 v79, v34, 0xbf5db3d7, v85
	v_fmac_f32_e32 v85, 0x3f5db3d7, v34
	v_lshl_add_u32 v157, v19, 3, v154
	v_lshl_add_u32 v162, v18, 3, v154
	;; [unrolled: 1-line block ×4, first 2 shown]
	v_mul_u32_u24_e32 v160, 3, v169
	ds_store_2addr_b64 v157, v[2:3], v[28:29] offset1:1
	ds_store_b64 v157, v[14:15] offset:16
	ds_store_2addr_b64 v162, v[24:25], v[30:31] offset1:1
	ds_store_b64 v162, v[4:5] offset:16
	;; [unrolled: 2-line block ×4, first 2 shown]
	s_and_saveexec_b32 s0, vcc_lo
	s_cbranch_execz .LBB0_7
; %bb.6:
	v_add_f32_e32 v0, v9, v11
	v_add_f32_e32 v2, v8, v10
	v_lshl_add_u32 v3, v160, 3, v154
	s_delay_alu instid0(VALU_DEP_2)
	v_dual_add_f32 v1, v0, v33 :: v_dual_add_f32 v0, v2, v32
	ds_store_2addr_b64 v3, v[0:1], v[78:79] offset1:1
	ds_store_b64 v3, v[84:85] offset:16
.LBB0_7:
	s_wait_alu 0xfffe
	s_or_b32 exec_lo, exec_lo, s0
	v_and_b32_e32 v0, 0xff, v152
	global_wb scope:SCOPE_SE
	s_wait_dscnt 0x0
	s_barrier_signal -1
	s_barrier_wait -1
	global_inv scope:SCOPE_SE
	v_mul_lo_u16 v0, 0xab, v0
	s_delay_alu instid0(VALU_DEP_1) | instskip(NEXT) | instid1(VALU_DEP_1)
	v_lshrrev_b16 v32, 9, v0
	v_mul_lo_u16 v0, v32, 3
	s_delay_alu instid0(VALU_DEP_1) | instskip(NEXT) | instid1(VALU_DEP_1)
	v_sub_nc_u16 v0, v152, v0
	v_and_b32_e32 v45, 0xff, v0
	s_delay_alu instid0(VALU_DEP_1)
	v_mad_co_u64_u32 v[28:29], null, 0x78, v45, s[2:3]
	s_clause 0x7
	global_load_b128 v[24:27], v[28:29], off
	global_load_b128 v[16:19], v[28:29], off offset:16
	global_load_b128 v[8:11], v[28:29], off offset:32
	global_load_b128 v[0:3], v[28:29], off offset:48
	global_load_b128 v[20:23], v[28:29], off offset:64
	global_load_b128 v[12:15], v[28:29], off offset:80
	global_load_b128 v[4:7], v[28:29], off offset:96
	global_load_b64 v[147:148], v[28:29], off offset:112
	v_and_b32_e32 v36, 0xffff, v32
	ds_load_2addr_b64 v[32:35], v151 offset0:54 offset1:81
	ds_load_2addr_b64 v[28:31], v151 offset1:27
	v_add_nc_u32_e32 v64, 0x800, v151
	ds_load_2addr_b64 v[41:44], v151 offset0:162 offset1:189
	s_wait_loadcnt_dscnt 0x702
	v_mul_f32_e32 v63, v33, v27
	s_wait_loadcnt 0x6
	v_mul_f32_e32 v67, v34, v17
	v_mul_u32_u24_e32 v46, 48, v36
	ds_load_2addr_b64 v[36:39], v151 offset0:108 offset1:135
	s_wait_dscnt 0x2
	v_dual_mul_f32 v62, v30, v25 :: v_dual_mul_f32 v65, v32, v27
	v_mul_f32_e32 v66, v35, v17
	v_or_b32_e32 v61, v46, v45
	ds_load_2addr_b64 v[45:48], v151 offset0:216 offset1:243
	ds_load_2addr_b64 v[49:52], v64 offset0:14 offset1:41
	;; [unrolled: 1-line block ×4, first 2 shown]
	s_wait_loadcnt_dscnt 0x405
	v_dual_mul_f32 v72, v42, v11 :: v_dual_mul_f32 v75, v43, v1
	v_dual_mul_f32 v73, v41, v11 :: v_dual_mul_f32 v74, v44, v1
	v_lshl_add_u32 v155, v61, 3, v154
	v_mul_f32_e32 v61, v31, v25
	v_dual_fmac_f32 v62, v31, v24 :: v_dual_fmac_f32 v65, v33, v26
	v_fma_f32 v31, v32, v26, -v63
	v_fma_f32 v32, v34, v16, -v66
	s_delay_alu instid0(VALU_DEP_4)
	v_fma_f32 v30, v30, v24, -v61
	global_wb scope:SCOPE_SE
	s_wait_loadcnt_dscnt 0x0
	s_barrier_signal -1
	s_barrier_wait -1
	v_dual_mul_f32 v69, v36, v19 :: v_dual_mul_f32 v70, v39, v9
	v_dual_mul_f32 v77, v45, v3 :: v_dual_mul_f32 v80, v48, v21
	;; [unrolled: 1-line block ×7, first 2 shown]
	v_fma_f32 v34, v38, v8, -v70
	v_fma_f32 v38, v47, v20, -v80
	v_fmac_f32_e32 v75, v44, v0
	v_fmac_f32_e32 v87, v52, v12
	v_fmac_f32_e32 v77, v46, v2
	v_fmac_f32_e32 v67, v35, v16
	v_fma_f32 v35, v41, v10, -v72
	v_fma_f32 v44, v57, v6, -v92
	v_dual_mul_f32 v76, v46, v3 :: v_dual_mul_f32 v81, v47, v21
	v_dual_mul_f32 v93, v57, v7 :: v_dual_mul_f32 v94, v60, v148
	v_fma_f32 v33, v36, v18, -v68
	s_delay_alu instid0(VALU_DEP_4)
	v_dual_fmac_f32 v69, v37, v18 :: v_dual_sub_f32 v44, v35, v44
	v_fmac_f32_e32 v83, v50, v22
	v_fmac_f32_e32 v73, v42, v10
	v_fma_f32 v42, v53, v14, -v88
	v_fmac_f32_e32 v71, v39, v8
	v_fma_f32 v36, v43, v0, -v74
	v_fma_f32 v37, v45, v2, -v76
	;; [unrolled: 1-line block ×3, first 2 shown]
	v_sub_f32_e32 v42, v33, v42
	v_fma_f32 v41, v51, v12, -v86
	v_fma_f32 v45, v59, v147, -v94
	v_dual_sub_f32 v46, v29, v77 :: v_dual_fmac_f32 v81, v48, v20
	s_delay_alu instid0(VALU_DEP_3) | instskip(NEXT) | instid1(VALU_DEP_3)
	v_dual_sub_f32 v48, v65, v83 :: v_dual_sub_f32 v41, v32, v41
	v_sub_f32_e32 v45, v36, v45
	v_fma_f32 v33, v33, 2.0, -v42
	v_fma_f32 v35, v35, 2.0, -v44
	v_add_f32_e32 v42, v46, v42
	v_sub_f32_e32 v50, v62, v81
	v_dual_add_f32 v44, v48, v44 :: v_dual_sub_f32 v39, v31, v39
	v_fma_f32 v32, v32, 2.0, -v41
	v_fma_f32 v36, v36, 2.0, -v45
	v_fmac_f32_e32 v93, v58, v6
	v_fma_f32 v57, v62, 2.0, -v50
	v_fmamk_f32 v62, v44, 0x3f3504f3, v42
	v_fma_f32 v31, v31, 2.0, -v39
	v_dual_sub_f32 v36, v32, v36 :: v_dual_mul_f32 v89, v53, v15
	v_mul_f32_e32 v90, v56, v5
	v_fma_f32 v29, v29, 2.0, -v46
	s_delay_alu instid0(VALU_DEP_4)
	v_sub_f32_e32 v35, v31, v35
	v_sub_f32_e32 v49, v73, v93
	v_fmac_f32_e32 v91, v56, v4
	v_fma_f32 v43, v55, v4, -v90
	v_fma_f32 v55, v65, 2.0, -v48
	v_sub_f32_e32 v38, v30, v38
	v_fma_f32 v56, v73, 2.0, -v49
	v_dual_fmac_f32 v89, v54, v14 :: v_dual_sub_f32 v52, v67, v87
	v_fma_f32 v48, v48, 2.0, -v44
	s_delay_alu instid0(VALU_DEP_4) | instskip(NEXT) | instid1(VALU_DEP_4)
	v_fma_f32 v30, v30, 2.0, -v38
	v_dual_sub_f32 v56, v55, v56 :: v_dual_sub_f32 v43, v34, v43
	s_delay_alu instid0(VALU_DEP_4) | instskip(SKIP_4) | instid1(VALU_DEP_1)
	v_fma_f32 v59, v67, 2.0, -v52
	v_fma_f32 v32, v32, 2.0, -v36
	;; [unrolled: 1-line block ×3, first 2 shown]
	global_inv scope:SCOPE_SE
	v_fma_f32 v34, v34, 2.0, -v43
	v_dual_fmac_f32 v95, v60, v147 :: v_dual_sub_f32 v34, v30, v34
	s_delay_alu instid0(VALU_DEP_1) | instskip(NEXT) | instid1(VALU_DEP_2)
	v_sub_f32_e32 v53, v75, v95
	v_fma_f32 v30, v30, 2.0, -v34
	s_delay_alu instid0(VALU_DEP_2) | instskip(NEXT) | instid1(VALU_DEP_1)
	v_fma_f32 v60, v75, 2.0, -v53
	v_dual_sub_f32 v47, v69, v89 :: v_dual_sub_f32 v60, v59, v60
	s_delay_alu instid0(VALU_DEP_1) | instskip(NEXT) | instid1(VALU_DEP_1)
	v_fma_f32 v54, v69, 2.0, -v47
	v_sub_f32_e32 v54, v29, v54
	s_delay_alu instid0(VALU_DEP_1)
	v_dual_add_f32 v68, v54, v35 :: v_dual_sub_f32 v49, v39, v49
	v_sub_f32_e32 v51, v71, v91
	v_fma_f32 v67, v29, 2.0, -v54
	v_fma_f32 v29, v55, 2.0, -v56
	v_fma_f32 v55, v59, 2.0, -v60
	v_fmac_f32_e32 v62, 0x3f3504f3, v49
	v_fma_f32 v58, v71, 2.0, -v51
	v_sub_f32_e32 v37, v28, v37
	v_fmamk_f32 v59, v48, 0xbf3504f3, v46
	v_fma_f32 v54, v54, 2.0, -v68
	v_fma_f32 v72, v42, 2.0, -v62
	v_sub_f32_e32 v58, v57, v58
	v_sub_f32_e32 v47, v37, v47
	v_fma_f32 v28, v28, 2.0, -v37
	s_delay_alu instid0(VALU_DEP_2) | instskip(NEXT) | instid1(VALU_DEP_1)
	v_fmamk_f32 v61, v49, 0x3f3504f3, v47
	v_fmac_f32_e32 v61, 0xbf3504f3, v44
	v_sub_f32_e32 v44, v34, v60
	s_delay_alu instid0(VALU_DEP_4) | instskip(NEXT) | instid1(VALU_DEP_1)
	v_dual_add_f32 v60, v58, v36 :: v_dual_sub_f32 v33, v28, v33
	v_dual_add_f32 v45, v52, v45 :: v_dual_sub_f32 v56, v33, v56
	v_fma_f32 v66, v28, 2.0, -v33
	v_fma_f32 v28, v31, 2.0, -v35
	v_fma_f32 v31, v57, 2.0, -v58
	v_sub_f32_e32 v53, v41, v53
	v_fma_f32 v70, v33, 2.0, -v56
	v_sub_f32_e32 v51, v38, v51
	v_fma_f32 v52, v52, 2.0, -v45
	v_dual_sub_f32 v36, v31, v55 :: v_dual_sub_f32 v35, v30, v32
	v_fma_f32 v41, v41, 2.0, -v53
	s_delay_alu instid0(VALU_DEP_4) | instskip(NEXT) | instid1(VALU_DEP_1)
	v_fmamk_f32 v63, v53, 0x3f3504f3, v51
	v_fmac_f32_e32 v63, 0xbf3504f3, v45
	s_delay_alu instid0(VALU_DEP_1) | instskip(SKIP_4) | instid1(VALU_DEP_3)
	v_fmamk_f32 v76, v63, 0x3f6c835e, v61
	v_fma_f32 v71, v47, 2.0, -v61
	v_add_f32_e32 v43, v50, v43
	v_fma_f32 v37, v37, 2.0, -v47
	v_fma_f32 v47, v34, 2.0, -v44
	v_fmamk_f32 v65, v45, 0x3f3504f3, v43
	v_dual_sub_f32 v45, v66, v28 :: v_dual_fmamk_f32 v28, v44, 0x3f3504f3, v56
	s_delay_alu instid0(VALU_DEP_1) | instskip(SKIP_1) | instid1(VALU_DEP_3)
	v_dual_fmac_f32 v65, 0x3f3504f3, v53 :: v_dual_sub_f32 v34, v45, v36
	v_fma_f32 v39, v39, 2.0, -v49
	v_fmac_f32_e32 v28, 0xbf3504f3, v60
	s_delay_alu instid0(VALU_DEP_3) | instskip(SKIP_1) | instid1(VALU_DEP_4)
	v_fmamk_f32 v77, v65, 0x3f6c835e, v62
	v_fmac_f32_e32 v76, 0xbec3ef15, v65
	v_fmamk_f32 v57, v39, 0xbf3504f3, v37
	v_fmac_f32_e32 v59, 0x3f3504f3, v39
	v_fma_f32 v39, v30, 2.0, -v35
	v_fmamk_f32 v30, v47, 0xbf3504f3, v70
	v_fma_f32 v38, v38, 2.0, -v51
	v_fma_f32 v51, v51, 2.0, -v63
	v_fmac_f32_e32 v57, 0xbf3504f3, v48
	v_fma_f32 v48, v58, 2.0, -v60
	v_fmac_f32_e32 v77, 0x3ec3ef15, v63
	v_fmamk_f32 v49, v41, 0xbf3504f3, v38
	v_fmamk_f32 v32, v51, 0xbec3ef15, v71
	v_fma_f32 v50, v50, 2.0, -v43
	v_fmac_f32_e32 v30, 0xbf3504f3, v48
	v_fma_f32 v43, v43, 2.0, -v65
	v_fmac_f32_e32 v49, 0xbf3504f3, v52
	v_fma_f32 v58, v37, 2.0, -v57
	v_fmamk_f32 v69, v52, 0xbf3504f3, v50
	s_delay_alu instid0(VALU_DEP_4) | instskip(SKIP_2) | instid1(VALU_DEP_4)
	v_fmac_f32_e32 v32, 0xbf6c835e, v43
	v_fma_f32 v52, v66, 2.0, -v45
	v_fma_f32 v66, v46, 2.0, -v59
	v_fmac_f32_e32 v69, 0x3f3504f3, v41
	v_fma_f32 v41, v31, 2.0, -v36
	v_fmamk_f32 v31, v48, 0xbf3504f3, v54
	v_fmamk_f32 v33, v43, 0xbec3ef15, v72
	;; [unrolled: 1-line block ×3, first 2 shown]
	v_fma_f32 v50, v50, 2.0, -v69
	v_sub_f32_e32 v53, v67, v29
	v_fmamk_f32 v29, v60, 0x3f3504f3, v68
	v_fmac_f32_e32 v31, 0x3f3504f3, v47
	v_fmac_f32_e32 v33, 0x3f6c835e, v51
	v_fmamk_f32 v42, v50, 0xbf6c835e, v66
	v_fma_f32 v55, v67, 2.0, -v53
	v_fma_f32 v67, v38, 2.0, -v49
	v_fmamk_f32 v37, v69, 0x3ec3ef15, v59
	v_dual_fmac_f32 v29, 0x3f3504f3, v44 :: v_dual_sub_f32 v38, v52, v39
	s_delay_alu instid0(VALU_DEP_3)
	v_dual_sub_f32 v39, v55, v41 :: v_dual_fmac_f32 v42, 0x3ec3ef15, v67
	v_fmamk_f32 v41, v67, 0xbf6c835e, v58
	v_dual_fmac_f32 v36, 0xbf6c835e, v69 :: v_dual_add_f32 v35, v53, v35
	v_fmac_f32_e32 v37, 0x3f6c835e, v49
	v_fma_f32 v43, v45, 2.0, -v34
	v_fma_f32 v45, v56, 2.0, -v28
	;; [unrolled: 1-line block ×5, first 2 shown]
	v_fmac_f32_e32 v41, 0xbec3ef15, v50
	ds_store_2addr_b64 v155, v[28:29], v[76:77] offset0:42 offset1:45
	v_fma_f32 v28, v52, 2.0, -v38
	v_fma_f32 v49, v70, 2.0, -v30
	;; [unrolled: 1-line block ×9, first 2 shown]
	ds_store_2addr_b64 v155, v[45:46], v[47:48] offset0:18 offset1:21
	ds_store_2addr_b64 v155, v[30:31], v[32:33] offset0:30 offset1:33
	v_fma_f32 v30, v58, 2.0, -v41
	v_fma_f32 v31, v66, 2.0, -v42
	ds_store_2addr_b64 v155, v[34:35], v[36:37] offset0:36 offset1:39
	ds_store_2addr_b64 v155, v[49:50], v[51:52] offset0:6 offset1:9
	;; [unrolled: 1-line block ×4, first 2 shown]
	ds_store_2addr_b64 v155, v[28:29], v[30:31] offset1:3
	global_wb scope:SCOPE_SE
	s_wait_dscnt 0x0
	s_barrier_signal -1
	s_barrier_wait -1
	global_inv scope:SCOPE_SE
	ds_load_2addr_b64 v[60:63], v151 offset1:27
	ds_load_2addr_b64 v[28:31], v151 offset0:108 offset1:144
	ds_load_2addr_b64 v[72:75], v64 offset0:32 offset1:59
	;; [unrolled: 1-line block ×6, first 2 shown]
	ds_load_b64 v[86:87], v151 offset:3168
	s_and_saveexec_b32 s0, vcc_lo
	s_cbranch_execz .LBB0_9
; %bb.8:
	v_add_nc_u32_e32 v32, 0x400, v151
	ds_load_2addr_b64 v[76:79], v32 offset0:7 offset1:151
	ds_load_b64 v[84:85], v151 offset:3384
.LBB0_9:
	s_wait_alu 0xfffe
	s_or_b32 exec_lo, exec_lo, s0
	v_lshlrev_b32_e32 v90, 4, v152
	v_add_co_u32 v41, s0, 0xffffffeb, v152
	s_wait_alu 0xf1ff
	v_add_co_ci_u32_e64 v42, null, 0, -1, s0
	global_load_b128 v[36:39], v90, s[2:3] offset:360
	v_cmp_gt_u16_e64 s0, 21, v152
	s_wait_alu 0xf1ff
	s_delay_alu instid0(VALU_DEP_1) | instskip(SKIP_2) | instid1(VALU_DEP_2)
	v_cndmask_b32_e64 v89, v42, v40, s0
	v_and_b32_e32 v42, 0xff, v172
	v_cndmask_b32_e64 v88, v41, v174, s0
	v_mul_lo_u16 v42, 0xab, v42
	s_delay_alu instid0(VALU_DEP_2) | instskip(NEXT) | instid1(VALU_DEP_2)
	v_lshlrev_b64_e32 v[40:41], 4, v[88:89]
	v_lshrrev_b16 v89, 13, v42
	s_delay_alu instid0(VALU_DEP_2) | instskip(SKIP_1) | instid1(VALU_DEP_3)
	v_add_co_u32 v40, s0, s2, v40
	s_wait_alu 0xf1ff
	v_add_co_ci_u32_e64 v41, s0, s3, v41, s0
	s_delay_alu instid0(VALU_DEP_3)
	v_mul_lo_u16 v42, v89, 48
	v_cmp_lt_u16_e64 s0, 20, v152
	global_load_b128 v[48:51], v[40:41], off offset:360
	v_and_b32_e32 v89, 0xffff, v89
	v_sub_nc_u16 v42, v172, v42
	s_wait_alu 0xf1ff
	v_cndmask_b32_e64 v94, 0, 0x90, s0
	v_add_nc_u32_e32 v91, 6, v152
	v_mul_u32_u24_e32 v89, 0x90, v89
	v_and_b32_e32 v92, 0xff, v42
	s_delay_alu instid0(VALU_DEP_4) | instskip(NEXT) | instid1(VALU_DEP_1)
	v_add_nc_u32_e32 v88, v88, v94
	v_lshl_add_u32 v167, v88, 3, v154
	s_delay_alu instid0(VALU_DEP_3) | instskip(NEXT) | instid1(VALU_DEP_1)
	v_add_nc_u32_e32 v88, v89, v92
	v_lshl_add_u32 v166, v88, 3, v154
	s_wait_loadcnt_dscnt 0x106
	v_mul_f32_e32 v88, v31, v37
	v_dual_mul_f32 v89, v30, v37 :: v_dual_lshlrev_b32 v32, 4, v91
	v_add_co_u32 v149, s0, s2, v90
	s_delay_alu instid0(VALU_DEP_3) | instskip(NEXT) | instid1(VALU_DEP_3)
	v_fma_f32 v30, v30, v36, -v88
	v_fmac_f32_e32 v89, v31, v36
	global_load_b128 v[32:35], v32, s[2:3] offset:360
	v_and_b32_e32 v43, 0xff, v171
	v_lshl_add_u32 v164, v91, 3, v154
	s_wait_alu 0xf1ff
	v_add_co_ci_u32_e64 v150, null, s3, 0, s0
	s_wait_dscnt 0x5
	v_mul_f32_e32 v90, v73, v39
	v_mul_lo_u16 v41, 0xab, v43
	s_delay_alu instid0(VALU_DEP_2) | instskip(NEXT) | instid1(VALU_DEP_2)
	v_fma_f32 v31, v72, v38, -v90
	v_lshrrev_b16 v41, 13, v41
	s_delay_alu instid0(VALU_DEP_1) | instskip(SKIP_3) | instid1(VALU_DEP_3)
	v_mul_lo_u16 v41, v41, 48
	s_wait_loadcnt_dscnt 0x104
	v_mul_f32_e32 v97, v80, v49
	v_mul_f32_e32 v99, v74, v51
	v_sub_nc_u16 v41, v171, v41
	s_delay_alu instid0(VALU_DEP_3) | instskip(NEXT) | instid1(VALU_DEP_3)
	v_fmac_f32_e32 v97, v81, v48
	v_fmac_f32_e32 v99, v75, v50
	s_delay_alu instid0(VALU_DEP_3) | instskip(SKIP_1) | instid1(VALU_DEP_2)
	v_and_b32_e32 v93, 0xff, v41
	v_dual_mul_f32 v92, v72, v39 :: v_dual_lshlrev_b32 v41, 4, v92
	v_lshl_add_u32 v165, v93, 3, v154
	global_load_b128 v[52:55], v41, s[2:3] offset:360
	v_and_b32_e32 v40, 0xff, v169
	v_fmac_f32_e32 v92, v73, v38
	s_delay_alu instid0(VALU_DEP_2) | instskip(NEXT) | instid1(VALU_DEP_1)
	v_mul_lo_u16 v40, 0xab, v40
	v_lshrrev_b16 v40, 13, v40
	s_delay_alu instid0(VALU_DEP_1) | instskip(NEXT) | instid1(VALU_DEP_1)
	v_mul_lo_u16 v40, v40, 48
	v_sub_nc_u16 v40, v169, v40
	s_delay_alu instid0(VALU_DEP_1)
	v_and_b32_e32 v156, 0xff, v40
	v_lshlrev_b32_e32 v40, 4, v93
	s_wait_loadcnt 0x1
	v_mul_f32_e32 v72, v83, v33
	s_wait_dscnt 0x2
	v_mul_f32_e32 v90, v65, v35
	v_mul_f32_e32 v93, v64, v35
	s_delay_alu instid0(VALU_DEP_3) | instskip(SKIP_4) | instid1(VALU_DEP_4)
	v_fma_f32 v72, v82, v32, -v72
	v_mul_f32_e32 v88, v82, v33
	v_add_nc_u32_e32 v91, 0x800, v165
	v_fma_f32 v73, v64, v34, -v90
	v_sub_f32_e32 v82, v89, v92
	v_dual_fmac_f32 v93, v65, v34 :: v_dual_fmac_f32 v88, v83, v32
	v_add_f32_e32 v83, v61, v89
	s_delay_alu instid0(VALU_DEP_4)
	v_sub_f32_e32 v95, v72, v73
	v_lshlrev_b32_e32 v41, 4, v156
	v_add_f32_e32 v89, v89, v92
	s_clause 0x1
	global_load_b128 v[44:47], v40, s[2:3] offset:360
	global_load_b128 v[40:43], v41, s[2:3] offset:360
	v_dual_add_f32 v64, v60, v30 :: v_dual_add_f32 v65, v30, v31
	v_sub_f32_e32 v90, v30, v31
	v_fma_f32 v61, -0.5, v89, v61
	v_add_f32_e32 v94, v57, v88
	s_delay_alu instid0(VALU_DEP_4)
	v_dual_add_f32 v30, v64, v31 :: v_dual_add_f32 v31, v83, v92
	v_sub_f32_e32 v92, v88, v93
	v_add_f32_e32 v88, v88, v93
	v_fma_f32 v60, -0.5, v65, v60
	v_add_f32_e32 v83, v56, v72
	v_dual_add_f32 v89, v72, v73 :: v_dual_mul_f32 v98, v75, v51
	s_delay_alu instid0(VALU_DEP_4)
	v_fma_f32 v57, -0.5, v88, v57
	v_mul_f32_e32 v96, v81, v49
	v_fmamk_f32 v64, v82, 0x3f5db3d7, v60
	v_dual_fmamk_f32 v65, v90, 0xbf5db3d7, v61 :: v_dual_add_f32 v72, v83, v73
	v_fma_f32 v56, -0.5, v89, v56
	v_add_f32_e32 v73, v94, v93
	v_fma_f32 v81, v74, v50, -v98
	v_fmamk_f32 v75, v95, 0xbf5db3d7, v57
	v_fma_f32 v80, v80, v48, -v96
	v_fmac_f32_e32 v60, 0xbf5db3d7, v82
	v_fmac_f32_e32 v61, 0x3f5db3d7, v90
	global_wb scope:SCOPE_SE
	s_wait_loadcnt_dscnt 0x0
	s_barrier_signal -1
	s_barrier_wait -1
	global_inv scope:SCOPE_SE
	v_dual_fmamk_f32 v74, v92, 0x3f5db3d7, v56 :: v_dual_mul_f32 v83, v67, v55
	v_fmac_f32_e32 v56, 0xbf5db3d7, v92
	v_fmac_f32_e32 v57, 0x3f5db3d7, v95
	ds_store_2addr_b64 v151, v[30:31], v[64:65] offset1:48
	ds_store_b64 v151, v[60:61] offset:768
	v_dual_sub_f32 v65, v80, v81 :: v_dual_add_f32 v30, v62, v80
	v_add_f32_e32 v31, v80, v81
	v_add_f32_e32 v60, v63, v97
	;; [unrolled: 1-line block ×3, first 2 shown]
	v_mul_f32_e32 v80, v69, v53
	v_sub_f32_e32 v61, v97, v99
	v_fma_f32 v62, -0.5, v31, v62
	v_mul_f32_e32 v93, v86, v47
	v_mul_f32_e32 v97, v84, v43
	;; [unrolled: 1-line block ×4, first 2 shown]
	v_dual_mul_f32 v82, v68, v53 :: v_dual_fmac_f32 v63, -0.5, v64
	v_mul_f32_e32 v89, v71, v45
	v_dual_mul_f32 v90, v70, v45 :: v_dual_add_f32 v31, v60, v99
	v_dual_mul_f32 v92, v87, v47 :: v_dual_fmac_f32 v97, v85, v42
	v_mul_f32_e32 v94, v79, v41
	v_dual_mul_f32 v96, v85, v43 :: v_dual_fmac_f32 v95, v79, v40
	v_fma_f32 v64, v68, v52, -v80
	v_dual_fmac_f32 v82, v69, v52 :: v_dual_fmac_f32 v93, v87, v46
	v_fmac_f32_e32 v88, v67, v54
	v_fma_f32 v66, v66, v54, -v83
	v_fma_f32 v67, v70, v44, -v89
	v_fmac_f32_e32 v90, v71, v44
	v_fma_f32 v68, v86, v46, -v92
	v_fma_f32 v70, v84, v42, -v96
	v_fmamk_f32 v60, v61, 0x3f5db3d7, v62
	v_dual_fmac_f32 v62, 0xbf5db3d7, v61 :: v_dual_fmamk_f32 v61, v65, 0xbf5db3d7, v63
	v_fma_f32 v69, v78, v40, -v94
	v_fmac_f32_e32 v63, 0x3f5db3d7, v65
	v_add_f32_e32 v65, v58, v64
	v_dual_add_f32 v80, v82, v88 :: v_dual_sub_f32 v89, v95, v97
	v_dual_add_f32 v30, v30, v81 :: v_dual_add_f32 v71, v64, v66
	v_dual_sub_f32 v78, v82, v88 :: v_dual_add_f32 v87, v69, v70
	v_add_f32_e32 v79, v59, v82
	v_add_f32_e32 v81, v28, v67
	v_dual_sub_f32 v64, v64, v66 :: v_dual_sub_f32 v83, v90, v93
	v_dual_add_f32 v82, v67, v68 :: v_dual_add_f32 v85, v90, v93
	v_add_f32_e32 v84, v29, v90
	v_dual_add_f32 v86, v76, v69 :: v_dual_sub_f32 v69, v69, v70
	v_dual_add_f32 v90, v77, v95 :: v_dual_fmac_f32 v59, -0.5, v80
	v_add_f32_e32 v92, v95, v97
	v_sub_f32_e32 v67, v67, v68
	ds_store_2addr_b64 v167, v[30:31], v[60:61] offset1:48
	ds_store_b64 v167, v[62:63] offset:768
	ds_store_b64 v151, v[72:73] offset:1200
	;; [unrolled: 1-line block ×4, first 2 shown]
	v_fma_f32 v58, -0.5, v71, v58
	v_fmamk_f32 v61, v64, 0xbf5db3d7, v59
	v_fma_f32 v28, -0.5, v82, v28
	v_dual_add_f32 v80, v86, v70 :: v_dual_fmac_f32 v77, -0.5, v92
	v_fmac_f32_e32 v76, -0.5, v87
	v_dual_add_f32 v56, v81, v68 :: v_dual_fmac_f32 v29, -0.5, v85
	v_dual_add_f32 v31, v79, v88 :: v_dual_add_f32 v30, v65, v66
	v_add_f32_e32 v57, v84, v93
	v_add_f32_e32 v81, v90, v97
	v_dual_fmamk_f32 v60, v78, 0x3f5db3d7, v58 :: v_dual_fmac_f32 v59, 0x3f5db3d7, v64
	v_fmamk_f32 v62, v83, 0x3f5db3d7, v28
	v_dual_fmac_f32 v28, 0xbf5db3d7, v83 :: v_dual_fmamk_f32 v83, v69, 0xbf5db3d7, v77
	v_dual_fmamk_f32 v82, v89, 0x3f5db3d7, v76 :: v_dual_fmac_f32 v77, 0x3f5db3d7, v69
	v_fmac_f32_e32 v76, 0xbf5db3d7, v89
	v_dual_fmac_f32 v58, 0xbf5db3d7, v78 :: v_dual_fmamk_f32 v63, v67, 0xbf5db3d7, v29
	v_fmac_f32_e32 v29, 0x3f5db3d7, v67
	ds_store_2addr_b64 v166, v[30:31], v[60:61] offset1:48
	ds_store_b64 v166, v[58:59] offset:768
	ds_store_2addr_b64 v91, v[56:57], v[62:63] offset0:32 offset1:80
	ds_store_b64 v165, v[28:29] offset:3072
	s_and_saveexec_b32 s0, vcc_lo
	s_cbranch_execz .LBB0_11
; %bb.10:
	v_lshl_add_u32 v28, v156, 3, v154
	s_delay_alu instid0(VALU_DEP_1)
	v_add_nc_u32_e32 v29, 0x800, v28
	ds_store_2addr_b64 v29, v[80:81], v[82:83] offset0:32 offset1:80
	ds_store_b64 v28, v[76:77] offset:3072
.LBB0_11:
	s_wait_alu 0xfffe
	s_or_b32 exec_lo, exec_lo, s0
	v_add_nc_u32_e32 v84, 0x800, v151
	global_wb scope:SCOPE_SE
	s_wait_dscnt 0x0
	s_barrier_signal -1
	s_barrier_wait -1
	global_inv scope:SCOPE_SE
	ds_load_2addr_b64 v[94:97], v151 offset1:27
	ds_load_2addr_b64 v[86:89], v151 offset0:108 offset1:144
	ds_load_2addr_b64 v[98:101], v84 offset0:32 offset1:59
	;; [unrolled: 1-line block ×6, first 2 shown]
	ds_load_b64 v[78:79], v151 offset:3168
	s_and_saveexec_b32 s0, vcc_lo
	s_cbranch_execz .LBB0_13
; %bb.12:
	v_add_nc_u32_e32 v28, 0x400, v151
	ds_load_2addr_b64 v[80:83], v28 offset0:7 offset1:151
	ds_load_b64 v[76:77], v151 offset:3384
.LBB0_13:
	s_wait_alu 0xfffe
	s_or_b32 exec_lo, exec_lo, s0
	global_load_b128 v[60:63], v[149:150], off offset:1128
	v_lshlrev_b32_e32 v28, 4, v174
	v_lshlrev_b32_e32 v29, 4, v173
	v_lshl_add_u32 v149, v168, 3, v163
	s_wait_loadcnt_dscnt 0x5
	v_mul_f32_e32 v168, v98, v63
	global_load_b128 v[68:71], v29, s[2:3] offset:1128
	v_mul_f32_e32 v85, v89, v61
	global_load_b128 v[72:75], v28, s[2:3] offset:1128
	v_lshlrev_b32_e32 v28, 4, v172
	v_lshlrev_b32_e32 v29, 4, v171
	s_clause 0x1
	global_load_b128 v[64:67], v28, s[2:3] offset:1128
	global_load_b128 v[56:59], v29, s[2:3] offset:1128
	v_add_co_u32 v28, s0, v152, -9
	s_wait_alu 0xf1ff
	v_add_co_ci_u32_e64 v29, null, 0, -1, s0
	v_dual_mul_f32 v150, v88, v61 :: v_dual_mul_f32 v163, v99, v63
	s_delay_alu instid0(VALU_DEP_2) | instskip(NEXT) | instid1(VALU_DEP_2)
	v_dual_cndmask_b32 v28, v28, v169 :: v_dual_cndmask_b32 v29, v29, v170
	v_dual_fmac_f32 v150, v89, v60 :: v_dual_add_nc_u32 v169, 0x600, v149
	v_fma_f32 v85, v88, v60, -v85
	s_delay_alu instid0(VALU_DEP_4) | instskip(NEXT) | instid1(VALU_DEP_4)
	v_fma_f32 v88, v98, v62, -v163
	v_lshlrev_b64_e32 v[28:29], 4, v[28:29]
	v_fmac_f32_e32 v168, v99, v62
	s_delay_alu instid0(VALU_DEP_2) | instskip(SKIP_1) | instid1(VALU_DEP_3)
	v_add_co_u32 v28, s0, s2, v28
	s_wait_alu 0xf1ff
	v_add_co_ci_u32_e64 v29, s0, s3, v29, s0
	global_load_b128 v[28:31], v[28:29], off offset:1128
	s_wait_loadcnt_dscnt 0x402
	v_dual_mul_f32 v170, v105, v69 :: v_dual_mul_f32 v173, v106, v71
	s_wait_loadcnt 0x3
	v_mul_f32_e32 v89, v103, v73
	v_dual_mul_f32 v98, v102, v73 :: v_dual_mul_f32 v163, v100, v75
	v_mul_f32_e32 v99, v101, v75
	v_dual_mul_f32 v171, v104, v69 :: v_dual_mul_f32 v172, v107, v71
	s_wait_loadcnt_dscnt 0x201
	v_dual_mul_f32 v174, v111, v65 :: v_dual_mul_f32 v177, v108, v67
	s_wait_loadcnt_dscnt 0x100
	v_dual_mul_f32 v175, v110, v65 :: v_dual_mul_f32 v180, v79, v59
	v_mul_f32_e32 v176, v109, v67
	v_dual_mul_f32 v178, v113, v57 :: v_dual_mul_f32 v181, v78, v59
	v_dual_mul_f32 v179, v112, v57 :: v_dual_fmac_f32 v98, v103, v72
	v_fma_f32 v102, v102, v72, -v89
	v_fma_f32 v99, v100, v74, -v99
	v_fmac_f32_e32 v163, v101, v74
	v_fma_f32 v100, v104, v68, -v170
	v_fmac_f32_e32 v171, v105, v68
	;; [unrolled: 2-line block ×3, first 2 shown]
	v_fma_f32 v103, v110, v64, -v174
	v_fma_f32 v104, v108, v66, -v176
	v_add_f32_e32 v108, v150, v168
	v_fma_f32 v106, v78, v58, -v180
	v_dual_fmac_f32 v181, v79, v58 :: v_dual_add_f32 v78, v94, v85
	v_add_f32_e32 v79, v85, v88
	v_dual_add_f32 v89, v95, v150 :: v_dual_sub_f32 v172, v100, v101
	v_dual_fmac_f32 v175, v111, v64 :: v_dual_sub_f32 v110, v98, v163
	s_delay_alu instid0(VALU_DEP_4)
	v_dual_fmac_f32 v177, v109, v66 :: v_dual_add_f32 v78, v78, v88
	v_fma_f32 v105, v112, v56, -v178
	v_dual_fmac_f32 v179, v113, v56 :: v_dual_add_f32 v112, v98, v163
	v_sub_f32_e32 v107, v150, v168
	v_sub_f32_e32 v85, v85, v88
	v_dual_add_f32 v109, v102, v99 :: v_dual_add_f32 v176, v103, v104
	v_dual_add_f32 v111, v97, v98 :: v_dual_sub_f32 v178, v175, v177
	v_dual_sub_f32 v113, v102, v99 :: v_dual_sub_f32 v182, v103, v104
	v_add_f32_e32 v150, v100, v101
	v_fma_f32 v88, -0.5, v79, v94
	v_dual_add_f32 v79, v89, v168 :: v_dual_add_f32 v174, v92, v103
	v_fma_f32 v89, -0.5, v108, v95
	v_add_f32_e32 v108, v96, v102
	v_add_f32_e32 v102, v90, v100
	v_sub_f32_e32 v168, v171, v173
	v_add_f32_e32 v170, v91, v171
	v_dual_add_f32 v171, v171, v173 :: v_dual_add_f32 v180, v93, v175
	v_dual_add_f32 v175, v175, v177 :: v_dual_add_f32 v184, v105, v106
	;; [unrolled: 1-line block ×3, first 2 shown]
	v_sub_f32_e32 v185, v179, v181
	v_dual_add_f32 v179, v179, v181 :: v_dual_add_f32 v98, v108, v99
	v_dual_sub_f32 v187, v105, v106 :: v_dual_fmamk_f32 v94, v107, 0x3f5db3d7, v88
	v_dual_fmamk_f32 v95, v85, 0xbf5db3d7, v89 :: v_dual_add_f32 v100, v102, v101
	v_dual_fmac_f32 v89, 0x3f5db3d7, v85 :: v_dual_add_f32 v102, v174, v104
	v_fma_f32 v96, -0.5, v109, v96
	v_add_f32_e32 v99, v111, v163
	v_fma_f32 v90, -0.5, v150, v90
	s_wait_loadcnt 0x0
	v_mul_f32_e32 v150, v82, v29
	v_dual_add_f32 v101, v170, v173 :: v_dual_mul_f32 v170, v76, v31
	v_fma_f32 v91, -0.5, v171, v91
	v_fma_f32 v92, -0.5, v176, v92
	v_mul_f32_e32 v85, v83, v29
	v_mul_f32_e32 v163, v77, v31
	v_dual_fmac_f32 v88, 0xbf5db3d7, v107 :: v_dual_fmac_f32 v97, -0.5, v112
	v_dual_add_f32 v104, v183, v106 :: v_dual_add_f32 v103, v180, v177
	v_dual_fmamk_f32 v106, v110, 0x3f5db3d7, v96 :: v_dual_fmac_f32 v93, -0.5, v175
	v_dual_fmac_f32 v96, 0xbf5db3d7, v110 :: v_dual_fmac_f32 v87, -0.5, v179
	v_dual_fmamk_f32 v109, v172, 0xbf5db3d7, v91 :: v_dual_fmac_f32 v150, v83, v28
	v_dual_fmac_f32 v91, 0x3f5db3d7, v172 :: v_dual_fmac_f32 v170, v77, v30
	v_fmamk_f32 v110, v178, 0x3f5db3d7, v92
	v_fmac_f32_e32 v92, 0xbf5db3d7, v178
	ds_store_b64 v151, v[94:95] offset:1152
	ds_store_b64 v151, v[88:89] offset:2304
	ds_store_2addr_b64 v151, v[78:79], v[98:99] offset1:27
	v_fma_f32 v78, v82, v28, -v85
	v_fma_f32 v76, v76, v30, -v163
	v_fma_f32 v86, -0.5, v184, v86
	v_dual_add_f32 v105, v186, v181 :: v_dual_fmamk_f32 v108, v168, 0x3f5db3d7, v90
	v_fmamk_f32 v107, v113, 0xbf5db3d7, v97
	s_delay_alu instid0(VALU_DEP_3)
	v_dual_fmac_f32 v97, 0x3f5db3d7, v113 :: v_dual_fmamk_f32 v112, v185, 0x3f5db3d7, v86
	v_dual_fmac_f32 v90, 0xbf5db3d7, v168 :: v_dual_fmamk_f32 v113, v187, 0xbf5db3d7, v87
	v_add_f32_e32 v82, v150, v170
	v_sub_f32_e32 v85, v150, v170
	v_add_f32_e32 v77, v78, v76
	v_fmamk_f32 v111, v182, 0xbf5db3d7, v93
	v_add_f32_e32 v79, v80, v78
	v_add_f32_e32 v83, v81, v150
	s_delay_alu instid0(VALU_DEP_4) | instskip(SKIP_1) | instid1(VALU_DEP_4)
	v_dual_fmac_f32 v81, -0.5, v82 :: v_dual_fmac_f32 v80, -0.5, v77
	v_sub_f32_e32 v77, v78, v76
	v_dual_fmac_f32 v93, 0x3f5db3d7, v182 :: v_dual_add_f32 v82, v79, v76
	v_fmac_f32_e32 v86, 0xbf5db3d7, v185
	v_fmac_f32_e32 v87, 0x3f5db3d7, v187
	ds_store_2addr_b64 v151, v[106:107], v[108:109] offset0:171 offset1:198
	ds_store_2addr_b64 v84, v[96:97], v[90:91] offset0:59 offset1:86
	v_dual_fmamk_f32 v84, v85, 0x3f5db3d7, v80 :: v_dual_add_f32 v83, v83, v170
	v_dual_fmac_f32 v80, 0xbf5db3d7, v85 :: v_dual_fmamk_f32 v85, v77, 0xbf5db3d7, v81
	v_fmac_f32_e32 v81, 0x3f5db3d7, v77
	ds_store_2addr_b64 v151, v[100:101], v[102:103] offset0:54 offset1:81
	ds_store_b64 v151, v[92:93] offset:2952
	ds_store_b64 v151, v[110:111] offset:1800
	;; [unrolled: 1-line block ×3, first 2 shown]
	ds_store_2addr_b64 v169, v[112:113], v[86:87] offset0:60 offset1:204
	s_and_saveexec_b32 s0, vcc_lo
	s_cbranch_execz .LBB0_15
; %bb.14:
	v_add_nc_u32_e32 v76, 0x400, v151
	ds_store_2addr_b64 v76, v[82:83], v[84:85] offset0:7 offset1:151
	ds_store_b64 v151, v[80:81] offset:3384
.LBB0_15:
	s_wait_alu 0xfffe
	s_or_b32 exec_lo, exec_lo, s0
	global_wb scope:SCOPE_SE
	s_wait_dscnt 0x0
	s_barrier_signal -1
	s_barrier_wait -1
	global_inv scope:SCOPE_SE
	global_load_b64 v[77:78], v[115:116], off offset:3456
	v_lshlrev_b32_e32 v76, 3, v152
	s_add_nc_u64 s[0:1], s[16:17], 0xd80
	s_clause 0xd
	global_load_b64 v[111:112], v76, s[0:1] offset:1152
	global_load_b64 v[172:173], v76, s[0:1] offset:2304
	;; [unrolled: 1-line block ×14, first 2 shown]
	ds_load_2addr_b64 v[86:89], v151 offset1:27
	v_add_nc_u32_e32 v94, 0x800, v151
	s_wait_loadcnt_dscnt 0xb00
	v_dual_mul_f32 v150, v89, v175 :: v_dual_mul_f32 v79, v86, v78
	ds_load_2addr_b64 v[90:93], v151 offset0:108 offset1:144
	ds_load_2addr_b64 v[95:98], v94 offset0:32 offset1:59
	;; [unrolled: 1-line block ×6, first 2 shown]
	ds_load_b64 v[198:199], v151 offset:3168
	v_mul_f32_e32 v113, v87, v78
	v_fmac_f32_e32 v79, v87, v77
	s_delay_alu instid0(VALU_DEP_2)
	v_fma_f32 v78, v86, v77, -v113
	s_wait_dscnt 0x6
	v_mul_f32_e32 v77, v93, v112
	s_wait_loadcnt_dscnt 0x905
	v_dual_mul_f32 v87, v92, v112 :: v_dual_mul_f32 v200, v98, v179
	s_wait_loadcnt_dscnt 0x704
	v_dual_mul_f32 v113, v96, v173 :: v_dual_mul_f32 v202, v102, v183
	v_dual_mul_f32 v112, v95, v173 :: v_dual_mul_f32 v173, v88, v175
	s_wait_loadcnt_dscnt 0x503
	v_dual_mul_f32 v163, v100, v177 :: v_dual_mul_f32 v204, v106, v187
	s_wait_loadcnt_dscnt 0x302
	v_dual_mul_f32 v175, v99, v177 :: v_dual_mul_f32 v206, v110, v191
	v_dual_mul_f32 v177, v97, v179 :: v_dual_fmac_f32 v112, v96, v172
	s_wait_loadcnt_dscnt 0x101
	v_dual_mul_f32 v201, v104, v181 :: v_dual_mul_f32 v208, v171, v195
	v_mul_f32_e32 v179, v103, v181
	v_mul_f32_e32 v181, v101, v183
	;; [unrolled: 1-line block ×11, first 2 shown]
	s_wait_loadcnt_dscnt 0x0
	v_mul_f32_e32 v209, v199, v197
	v_mul_f32_e32 v195, v198, v197
	v_fma_f32 v86, v92, v111, -v77
	v_fmac_f32_e32 v87, v93, v111
	v_fma_f32 v111, v95, v172, -v113
	v_fma_f32 v172, v88, v174, -v150
	v_fmac_f32_e32 v173, v89, v174
	v_fma_f32 v174, v99, v176, -v163
	v_fmac_f32_e32 v175, v100, v176
	;; [unrolled: 2-line block ×12, first 2 shown]
	ds_store_2addr_b64 v151, v[78:79], v[172:173] offset1:27
	ds_store_2addr_b64 v94, v[111:112], v[176:177] offset0:32 offset1:59
	ds_store_2addr_b64 v151, v[174:175], v[180:181] offset0:171 offset1:198
	ds_store_2addr_b64 v151, v[178:179], v[184:185] offset0:54 offset1:81
	ds_store_2addr_b64 v94, v[182:183], v[188:189] offset0:86 offset1:113
	ds_store_2addr_b64 v151, v[190:191], v[86:87] offset0:108 offset1:144
	ds_store_2addr_b64 v151, v[186:187], v[192:193] offset0:225 offset1:252
	ds_store_b64 v151, v[194:195] offset:3168
	s_and_saveexec_b32 s2, vcc_lo
	s_cbranch_execz .LBB0_17
; %bb.16:
	s_wait_alu 0xfffe
	v_add_co_u32 v76, s0, s0, v76
	s_wait_alu 0xf1ff
	v_add_co_ci_u32_e64 v77, null, s1, 0, s0
	s_clause 0x2
	global_load_b64 v[86:87], v[76:77], off offset:1080
	global_load_b64 v[88:89], v[76:77], off offset:2232
	;; [unrolled: 1-line block ×3, first 2 shown]
	v_add_nc_u32_e32 v97, 0x400, v151
	ds_load_2addr_b64 v[76:79], v97 offset0:7 offset1:151
	ds_load_b64 v[92:93], v151 offset:3384
	s_wait_loadcnt_dscnt 0x101
	v_dual_mul_f32 v95, v77, v87 :: v_dual_mul_f32 v98, v79, v89
	v_dual_mul_f32 v96, v76, v87 :: v_dual_mul_f32 v87, v78, v89
	s_wait_loadcnt_dscnt 0x0
	v_mul_f32_e32 v99, v93, v91
	v_mul_f32_e32 v89, v92, v91
	v_fma_f32 v95, v76, v86, -v95
	v_fmac_f32_e32 v96, v77, v86
	v_fma_f32 v86, v78, v88, -v98
	v_fmac_f32_e32 v87, v79, v88
	;; [unrolled: 2-line block ×3, first 2 shown]
	ds_store_2addr_b64 v97, v[95:96], v[86:87] offset0:7 offset1:151
	ds_store_b64 v151, v[88:89] offset:3384
.LBB0_17:
	s_wait_alu 0xfffe
	s_or_b32 exec_lo, exec_lo, s2
	global_wb scope:SCOPE_SE
	s_wait_dscnt 0x0
	s_barrier_signal -1
	s_barrier_wait -1
	global_inv scope:SCOPE_SE
	ds_load_2addr_b64 v[90:93], v151 offset1:27
	ds_load_2addr_b64 v[76:79], v151 offset0:108 offset1:144
	ds_load_2addr_b64 v[106:109], v94 offset0:32 offset1:59
	;; [unrolled: 1-line block ×6, first 2 shown]
	ds_load_b64 v[110:111], v151 offset:3168
	s_and_saveexec_b32 s0, vcc_lo
	s_cbranch_execz .LBB0_19
; %bb.18:
	v_add_nc_u32_e32 v80, 0x400, v151
	ds_load_2addr_b64 v[82:85], v80 offset0:7 offset1:151
	ds_load_b64 v[80:81], v151 offset:3384
.LBB0_19:
	s_wait_alu 0xfffe
	s_or_b32 exec_lo, exec_lo, s0
	s_wait_dscnt 0x5
	v_dual_add_f32 v112, v78, v106 :: v_dual_add_f32 v163, v79, v107
	v_dual_add_f32 v113, v90, v78 :: v_dual_sub_f32 v150, v79, v107
	v_add_f32_e32 v79, v91, v79
	s_delay_alu instid0(VALU_DEP_3) | instskip(SKIP_1) | instid1(VALU_DEP_3)
	v_fma_f32 v90, -0.5, v112, v90
	s_wait_dscnt 0x4
	v_dual_add_f32 v169, v102, v108 :: v_dual_add_f32 v112, v113, v106
	v_fma_f32 v91, -0.5, v163, v91
	v_sub_f32_e32 v78, v78, v106
	v_dual_fmamk_f32 v168, v150, 0xbf5db3d7, v90 :: v_dual_add_f32 v113, v79, v107
	v_fmac_f32_e32 v90, 0x3f5db3d7, v150
	v_add_f32_e32 v79, v92, v102
	v_fma_f32 v92, -0.5, v169, v92
	v_sub_f32_e32 v107, v103, v109
	v_fmamk_f32 v169, v78, 0x3f5db3d7, v91
	v_dual_fmac_f32 v91, 0xbf5db3d7, v78 :: v_dual_add_f32 v78, v103, v109
	v_add_f32_e32 v106, v79, v108
	s_delay_alu instid0(VALU_DEP_4) | instskip(SKIP_3) | instid1(VALU_DEP_3)
	v_dual_fmamk_f32 v170, v107, 0xbf5db3d7, v92 :: v_dual_add_f32 v79, v93, v103
	s_wait_dscnt 0x2
	v_dual_fmac_f32 v92, 0x3f5db3d7, v107 :: v_dual_add_f32 v103, v104, v98
	v_dual_fmac_f32 v93, -0.5, v78 :: v_dual_sub_f32 v78, v102, v108
	v_add_f32_e32 v107, v79, v109
	global_wb scope:SCOPE_SE
	s_wait_dscnt 0x0
	v_fma_f32 v102, -0.5, v103, v86
	v_dual_add_f32 v79, v86, v104 :: v_dual_sub_f32 v86, v105, v99
	s_barrier_signal -1
	s_barrier_wait -1
	global_inv scope:SCOPE_SE
	v_fmamk_f32 v172, v86, 0xbf5db3d7, v102
	v_dual_fmac_f32 v102, 0x3f5db3d7, v86 :: v_dual_fmamk_f32 v171, v78, 0x3f5db3d7, v93
	v_add_f32_e32 v108, v79, v98
	v_dual_fmac_f32 v93, 0xbf5db3d7, v78 :: v_dual_add_f32 v86, v94, v100
	v_dual_add_f32 v78, v105, v99 :: v_dual_add_f32 v79, v87, v105
	s_delay_alu instid0(VALU_DEP_1) | instskip(NEXT) | instid1(VALU_DEP_2)
	v_fma_f32 v103, -0.5, v78, v87
	v_dual_sub_f32 v78, v104, v98 :: v_dual_add_f32 v109, v79, v99
	v_add_f32_e32 v79, v88, v94
	v_fma_f32 v88, -0.5, v86, v88
	s_delay_alu instid0(VALU_DEP_3) | instskip(SKIP_1) | instid1(VALU_DEP_4)
	v_dual_sub_f32 v86, v95, v101 :: v_dual_fmamk_f32 v173, v78, 0x3f5db3d7, v103
	v_dual_fmac_f32 v103, 0xbf5db3d7, v78 :: v_dual_add_f32 v78, v95, v101
	v_add_f32_e32 v98, v79, v100
	s_delay_alu instid0(VALU_DEP_3) | instskip(SKIP_1) | instid1(VALU_DEP_4)
	v_dual_fmamk_f32 v104, v86, 0xbf5db3d7, v88 :: v_dual_add_f32 v79, v89, v95
	v_fmac_f32_e32 v88, 0x3f5db3d7, v86
	v_dual_fmac_f32 v89, -0.5, v78 :: v_dual_sub_f32 v78, v94, v100
	s_delay_alu instid0(VALU_DEP_3) | instskip(SKIP_1) | instid1(VALU_DEP_3)
	v_dual_add_f32 v86, v96, v110 :: v_dual_add_f32 v99, v79, v101
	v_add_f32_e32 v79, v76, v96
	v_fmamk_f32 v105, v78, 0x3f5db3d7, v89
	s_delay_alu instid0(VALU_DEP_3) | instskip(SKIP_3) | instid1(VALU_DEP_3)
	v_fma_f32 v76, -0.5, v86, v76
	v_dual_sub_f32 v86, v97, v111 :: v_dual_fmac_f32 v89, 0xbf5db3d7, v78
	v_add_f32_e32 v78, v77, v97
	v_dual_add_f32 v94, v79, v110 :: v_dual_add_f32 v79, v97, v111
	v_fmamk_f32 v100, v86, 0xbf5db3d7, v76
	s_delay_alu instid0(VALU_DEP_3) | instskip(NEXT) | instid1(VALU_DEP_3)
	v_dual_fmac_f32 v76, 0x3f5db3d7, v86 :: v_dual_add_f32 v95, v78, v111
	v_dual_add_f32 v78, v85, v81 :: v_dual_fmac_f32 v77, -0.5, v79
	v_sub_f32_e32 v79, v96, v110
	v_add_f32_e32 v86, v84, v80
	v_dual_sub_f32 v96, v85, v81 :: v_dual_sub_f32 v97, v84, v80
	s_delay_alu instid0(VALU_DEP_4) | instskip(NEXT) | instid1(VALU_DEP_4)
	v_fma_f32 v87, -0.5, v78, v83
	v_fmamk_f32 v101, v79, 0x3f5db3d7, v77
	s_delay_alu instid0(VALU_DEP_4) | instskip(SKIP_1) | instid1(VALU_DEP_4)
	v_fma_f32 v86, -0.5, v86, v82
	v_fmac_f32_e32 v77, 0xbf5db3d7, v79
	v_fmamk_f32 v79, v97, 0x3f5db3d7, v87
	s_delay_alu instid0(VALU_DEP_3)
	v_dual_fmac_f32 v87, 0xbf5db3d7, v97 :: v_dual_fmamk_f32 v78, v96, 0xbf5db3d7, v86
	v_fmac_f32_e32 v86, 0x3f5db3d7, v96
	ds_store_2addr_b64 v158, v[112:113], v[168:169] offset1:1
	ds_store_b64 v158, v[90:91] offset:16
	ds_store_2addr_b64 v157, v[106:107], v[170:171] offset1:1
	ds_store_b64 v157, v[92:93] offset:16
	;; [unrolled: 2-line block ×5, first 2 shown]
	s_and_saveexec_b32 s0, vcc_lo
	s_cbranch_execz .LBB0_21
; %bb.20:
	v_add_f32_e32 v76, v83, v85
	v_add_f32_e32 v82, v82, v84
	v_lshl_add_u32 v83, v160, 3, v154
	s_delay_alu instid0(VALU_DEP_2)
	v_dual_add_f32 v77, v76, v81 :: v_dual_add_f32 v76, v82, v80
	ds_store_2addr_b64 v83, v[76:77], v[78:79] offset1:1
	ds_store_b64 v83, v[86:87] offset:16
.LBB0_21:
	s_wait_alu 0xfffe
	s_or_b32 exec_lo, exec_lo, s0
	global_wb scope:SCOPE_SE
	s_wait_dscnt 0x0
	s_barrier_signal -1
	s_barrier_wait -1
	global_inv scope:SCOPE_SE
	ds_load_2addr_b64 v[80:83], v151 offset1:27
	ds_load_2addr_b64 v[88:91], v151 offset0:54 offset1:81
	ds_load_2addr_b64 v[92:95], v151 offset0:108 offset1:135
	v_add_nc_u32_e32 v84, 0x800, v151
	s_wait_dscnt 0x1
	v_dual_mul_f32 v76, v25, v83 :: v_dual_mul_f32 v77, v27, v89
	v_mul_f32_e32 v25, v25, v82
	ds_load_2addr_b64 v[96:99], v151 offset0:162 offset1:189
	ds_load_2addr_b64 v[100:103], v151 offset0:216 offset1:243
	;; [unrolled: 1-line block ×5, first 2 shown]
	v_dual_mul_f32 v27, v27, v88 :: v_dual_fmac_f32 v76, v24, v82
	s_wait_dscnt 0x5
	v_dual_mul_f32 v85, v17, v91 :: v_dual_mul_f32 v112, v19, v93
	v_mul_f32_e32 v17, v17, v90
	v_mul_f32_e32 v19, v19, v92
	v_fma_f32 v24, v24, v83, -v25
	v_fmac_f32_e32 v77, v26, v88
	v_fma_f32 v25, v26, v89, -v27
	v_fmac_f32_e32 v112, v18, v92
	v_fma_f32 v18, v18, v93, -v19
	global_wb scope:SCOPE_SE
	s_wait_dscnt 0x0
	s_barrier_signal -1
	s_barrier_wait -1
	global_inv scope:SCOPE_SE
	v_mul_f32_e32 v19, v11, v97
	v_dual_mul_f32 v26, v3, v101 :: v_dual_fmac_f32 v85, v16, v90
	v_fma_f32 v16, v16, v91, -v17
	v_mul_f32_e32 v17, v9, v95
	v_mul_f32_e32 v9, v9, v94
	;; [unrolled: 1-line block ×3, first 2 shown]
	s_delay_alu instid0(VALU_DEP_3) | instskip(NEXT) | instid1(VALU_DEP_3)
	v_dual_fmac_f32 v26, v2, v100 :: v_dual_fmac_f32 v17, v8, v94
	v_fma_f32 v8, v8, v95, -v9
	v_mul_f32_e32 v9, v11, v96
	v_mul_f32_e32 v11, v1, v99
	;; [unrolled: 1-line block ×3, first 2 shown]
	v_fma_f32 v2, v2, v101, -v3
	v_fmac_f32_e32 v19, v10, v96
	v_fma_f32 v9, v10, v97, -v9
	v_mul_f32_e32 v10, v21, v102
	v_fmac_f32_e32 v11, v0, v98
	v_fma_f32 v0, v0, v99, -v1
	v_dual_mul_f32 v3, v23, v105 :: v_dual_sub_f32 v2, v81, v2
	v_mul_f32_e32 v1, v21, v103
	v_fma_f32 v10, v20, v103, -v10
	v_mul_f32_e32 v21, v23, v104
	s_delay_alu instid0(VALU_DEP_4) | instskip(NEXT) | instid1(VALU_DEP_3)
	v_fma_f32 v27, v81, 2.0, -v2
	v_dual_fmac_f32 v3, v22, v104 :: v_dual_sub_f32 v10, v24, v10
	s_delay_alu instid0(VALU_DEP_3) | instskip(SKIP_3) | instid1(VALU_DEP_3)
	v_fma_f32 v21, v22, v105, -v21
	v_dual_mul_f32 v22, v15, v109 :: v_dual_fmac_f32 v1, v20, v102
	v_mul_f32_e32 v20, v13, v107
	v_mul_f32_e32 v13, v13, v106
	v_dual_sub_f32 v21, v25, v21 :: v_dual_fmac_f32 v22, v14, v108
	v_fma_f32 v24, v24, 2.0, -v10
	s_delay_alu instid0(VALU_DEP_4) | instskip(NEXT) | instid1(VALU_DEP_4)
	v_fmac_f32_e32 v20, v12, v106
	v_fma_f32 v12, v12, v107, -v13
	s_delay_alu instid0(VALU_DEP_4) | instskip(SKIP_1) | instid1(VALU_DEP_4)
	v_fma_f32 v25, v25, 2.0, -v21
	v_dual_sub_f32 v22, v112, v22 :: v_dual_mul_f32 v15, v15, v108
	v_sub_f32_e32 v20, v85, v20
	s_delay_alu instid0(VALU_DEP_4) | instskip(NEXT) | instid1(VALU_DEP_3)
	v_sub_f32_e32 v12, v16, v12
	v_fma_f32 v13, v14, v109, -v15
	v_mul_f32_e32 v14, v7, v158
	s_delay_alu instid0(VALU_DEP_3) | instskip(SKIP_1) | instid1(VALU_DEP_3)
	v_fma_f32 v16, v16, 2.0, -v12
	v_fma_f32 v81, v85, 2.0, -v20
	v_fmac_f32_e32 v14, v6, v157
	s_delay_alu instid0(VALU_DEP_1) | instskip(SKIP_1) | instid1(VALU_DEP_2)
	v_sub_f32_e32 v14, v19, v14
	v_mul_f32_e32 v7, v7, v157
	v_fma_f32 v19, v19, 2.0, -v14
	v_sub_f32_e32 v14, v21, v14
	s_delay_alu instid0(VALU_DEP_3) | instskip(SKIP_1) | instid1(VALU_DEP_3)
	v_fma_f32 v6, v6, v158, -v7
	v_sub_f32_e32 v7, v80, v26
	v_fma_f32 v21, v21, 2.0, -v14
	s_delay_alu instid0(VALU_DEP_3) | instskip(NEXT) | instid1(VALU_DEP_3)
	v_sub_f32_e32 v6, v9, v6
	v_fma_f32 v26, v80, 2.0, -v7
	v_fma_f32 v80, v112, 2.0, -v22
	v_sub_f32_e32 v22, v2, v22
	s_delay_alu instid0(VALU_DEP_4) | instskip(NEXT) | instid1(VALU_DEP_3)
	v_fma_f32 v9, v9, 2.0, -v6
	v_sub_f32_e32 v80, v26, v80
	s_delay_alu instid0(VALU_DEP_3) | instskip(SKIP_1) | instid1(VALU_DEP_4)
	v_fmamk_f32 v90, v14, 0x3f3504f3, v22
	v_sub_f32_e32 v13, v18, v13
	v_sub_f32_e32 v9, v25, v9
	;; [unrolled: 1-line block ×3, first 2 shown]
	v_fma_f32 v26, v26, 2.0, -v80
	v_fma_f32 v2, v2, 2.0, -v22
	;; [unrolled: 1-line block ×3, first 2 shown]
	v_add_f32_e32 v88, v80, v9
	v_fma_f32 v76, v76, 2.0, -v1
	s_delay_alu instid0(VALU_DEP_3) | instskip(SKIP_3) | instid1(VALU_DEP_4)
	v_dual_fmamk_f32 v83, v21, 0xbf3504f3, v2 :: v_dual_sub_f32 v18, v27, v18
	v_sub_f32_e32 v3, v77, v3
	v_mul_f32_e32 v23, v5, v111
	v_mul_f32_e32 v5, v5, v110
	v_fma_f32 v27, v27, 2.0, -v18
	s_delay_alu instid0(VALU_DEP_4) | instskip(SKIP_3) | instid1(VALU_DEP_4)
	v_add_f32_e32 v6, v3, v6
	v_fma_f32 v77, v77, 2.0, -v3
	v_fmac_f32_e32 v23, v4, v110
	v_fma_f32 v4, v4, v111, -v5
	v_dual_fmac_f32 v90, 0xbf3504f3, v6 :: v_dual_add_f32 v13, v7, v13
	v_fma_f32 v3, v3, 2.0, -v6
	s_delay_alu instid0(VALU_DEP_3) | instskip(NEXT) | instid1(VALU_DEP_3)
	v_sub_f32_e32 v4, v8, v4
	v_fma_f32 v22, v22, 2.0, -v90
	s_delay_alu instid0(VALU_DEP_4) | instskip(SKIP_1) | instid1(VALU_DEP_4)
	v_fma_f32 v7, v7, 2.0, -v13
	v_mul_f32_e32 v5, v148, v160
	v_fma_f32 v8, v8, 2.0, -v4
	v_dual_add_f32 v4, v1, v4 :: v_dual_fmac_f32 v83, 0xbf3504f3, v3
	s_delay_alu instid0(VALU_DEP_4) | instskip(NEXT) | instid1(VALU_DEP_3)
	v_dual_fmamk_f32 v82, v3, 0xbf3504f3, v7 :: v_dual_mul_f32 v15, v148, v159
	v_sub_f32_e32 v8, v24, v8
	s_delay_alu instid0(VALU_DEP_3) | instskip(NEXT) | instid1(VALU_DEP_3)
	v_fma_f32 v1, v1, 2.0, -v4
	v_fmac_f32_e32 v82, 0x3f3504f3, v21
	s_delay_alu instid0(VALU_DEP_4) | instskip(NEXT) | instid1(VALU_DEP_4)
	v_fma_f32 v15, v147, v160, -v15
	v_fma_f32 v24, v24, 2.0, -v8
	s_delay_alu instid0(VALU_DEP_2) | instskip(NEXT) | instid1(VALU_DEP_1)
	v_sub_f32_e32 v15, v0, v15
	v_fma_f32 v0, v0, 2.0, -v15
	v_fmac_f32_e32 v5, v147, v159
	v_add_f32_e32 v15, v20, v15
	s_delay_alu instid0(VALU_DEP_1) | instskip(SKIP_1) | instid1(VALU_DEP_2)
	v_dual_sub_f32 v0, v16, v0 :: v_dual_fmamk_f32 v93, v15, 0x3f3504f3, v4
	v_fma_f32 v20, v20, 2.0, -v15
	v_fma_f32 v16, v16, 2.0, -v0
	s_delay_alu instid0(VALU_DEP_1) | instskip(NEXT) | instid1(VALU_DEP_1)
	v_dual_sub_f32 v23, v17, v23 :: v_dual_sub_f32 v16, v24, v16
	v_fma_f32 v17, v17, 2.0, -v23
	v_sub_f32_e32 v23, v10, v23
	s_delay_alu instid0(VALU_DEP_3) | instskip(NEXT) | instid1(VALU_DEP_2)
	v_fma_f32 v3, v24, 2.0, -v16
	v_fma_f32 v10, v10, 2.0, -v23
	v_sub_f32_e32 v5, v11, v5
	s_delay_alu instid0(VALU_DEP_1) | instskip(SKIP_1) | instid1(VALU_DEP_1)
	v_fma_f32 v11, v11, 2.0, -v5
	v_sub_f32_e32 v5, v12, v5
	v_dual_sub_f32 v17, v76, v17 :: v_dual_fmamk_f32 v96, v5, 0x3f3504f3, v23
	v_fma_f32 v12, v12, 2.0, -v5
	s_delay_alu instid0(VALU_DEP_2) | instskip(SKIP_1) | instid1(VALU_DEP_4)
	v_dual_add_f32 v94, v17, v0 :: v_dual_fmamk_f32 v85, v6, 0x3f3504f3, v13
	v_fmac_f32_e32 v93, 0x3f3504f3, v5
	v_fmac_f32_e32 v96, 0xbf3504f3, v15
	s_delay_alu instid0(VALU_DEP_4)
	v_fmamk_f32 v92, v12, 0xbf3504f3, v10
	v_fma_f32 v76, v76, 2.0, -v17
	v_fmac_f32_e32 v85, 0x3f3504f3, v14
	v_fma_f32 v15, v4, 2.0, -v93
	v_fma_f32 v14, v80, 2.0, -v88
	v_fmac_f32_e32 v92, 0xbf3504f3, v20
	v_fmamk_f32 v80, v20, 0xbf3504f3, v1
	v_fma_f32 v91, v13, 2.0, -v85
	v_sub_f32_e32 v11, v81, v11
	v_fma_f32 v25, v25, 2.0, -v9
	v_fma_f32 v6, v10, 2.0, -v92
	v_dual_sub_f32 v19, v77, v19 :: v_dual_fmac_f32 v80, 0x3f3504f3, v12
	s_delay_alu instid0(VALU_DEP_4) | instskip(NEXT) | instid1(VALU_DEP_2)
	v_sub_f32_e32 v95, v8, v11
	v_fma_f32 v77, v77, 2.0, -v19
	s_delay_alu instid0(VALU_DEP_3) | instskip(NEXT) | instid1(VALU_DEP_3)
	v_fma_f32 v9, v1, 2.0, -v80
	v_fma_f32 v12, v8, 2.0, -v95
	v_fmamk_f32 v8, v15, 0xbec3ef15, v91
	v_fma_f32 v81, v81, 2.0, -v11
	v_sub_f32_e32 v77, v26, v77
	v_sub_f32_e32 v89, v18, v19
	v_fma_f32 v19, v2, 2.0, -v83
	v_sub_f32_e32 v25, v27, v25
	v_sub_f32_e32 v81, v76, v81
	v_fma_f32 v21, v26, 2.0, -v77
	v_fma_f32 v11, v17, 2.0, -v94
	s_delay_alu instid0(VALU_DEP_4) | instskip(NEXT) | instid1(VALU_DEP_4)
	v_fma_f32 v26, v27, 2.0, -v25
	v_fma_f32 v2, v76, 2.0, -v81
	;; [unrolled: 1-line block ×3, first 2 shown]
	s_delay_alu instid0(VALU_DEP_2) | instskip(SKIP_1) | instid1(VALU_DEP_3)
	v_dual_sub_f32 v1, v26, v3 :: v_dual_sub_f32 v0, v21, v2
	v_fma_f32 v13, v23, 2.0, -v96
	v_fmamk_f32 v2, v9, 0xbf6c835e, v27
	v_fmamk_f32 v3, v6, 0xbf6c835e, v19
	s_delay_alu instid0(VALU_DEP_4) | instskip(NEXT) | instid1(VALU_DEP_4)
	v_fma_f32 v4, v21, 2.0, -v0
	v_fmac_f32_e32 v8, 0x3f6c835e, v13
	v_fma_f32 v18, v18, 2.0, -v89
	v_fmac_f32_e32 v2, 0x3ec3ef15, v6
	v_fmamk_f32 v6, v11, 0xbf3504f3, v14
	v_fmac_f32_e32 v3, 0xbec3ef15, v9
	v_fmamk_f32 v9, v13, 0xbec3ef15, v22
	v_fmamk_f32 v7, v12, 0xbf3504f3, v18
	v_fma_f32 v10, v27, 2.0, -v2
	v_fmac_f32_e32 v6, 0x3f3504f3, v12
	s_delay_alu instid0(VALU_DEP_4) | instskip(NEXT) | instid1(VALU_DEP_4)
	v_dual_add_f32 v16, v77, v16 :: v_dual_fmac_f32 v9, 0xbf6c835e, v15
	v_fmac_f32_e32 v7, 0xbf3504f3, v11
	v_fma_f32 v11, v19, 2.0, -v3
	v_fmamk_f32 v19, v92, 0x3ec3ef15, v83
	s_delay_alu instid0(VALU_DEP_4)
	v_fma_f32 v20, v77, 2.0, -v16
	v_fma_f32 v15, v22, 2.0, -v9
	v_fma_f32 v13, v18, 2.0, -v7
	v_fmamk_f32 v18, v80, 0x3ec3ef15, v82
	v_fmamk_f32 v22, v94, 0x3f3504f3, v88
	;; [unrolled: 1-line block ×5, first 2 shown]
	v_dual_fmac_f32 v18, 0x3f6c835e, v92 :: v_dual_sub_f32 v17, v25, v81
	s_delay_alu instid0(VALU_DEP_4)
	v_fmac_f32_e32 v76, 0x3ec3ef15, v96
	v_fmac_f32_e32 v19, 0xbf6c835e, v80
	;; [unrolled: 1-line block ×5, first 2 shown]
	v_fma_f32 v5, v26, 2.0, -v1
	v_fma_f32 v12, v14, 2.0, -v6
	;; [unrolled: 1-line block ×10, first 2 shown]
	ds_store_2addr_b64 v155, v[4:5], v[10:11] offset1:3
	ds_store_2addr_b64 v155, v[12:13], v[14:15] offset0:6 offset1:9
	ds_store_2addr_b64 v155, v[20:21], v[24:25] offset0:12 offset1:15
	;; [unrolled: 1-line block ×7, first 2 shown]
	global_wb scope:SCOPE_SE
	s_wait_dscnt 0x0
	s_barrier_signal -1
	s_barrier_wait -1
	global_inv scope:SCOPE_SE
	ds_load_2addr_b64 v[12:15], v151 offset1:27
	ds_load_2addr_b64 v[4:7], v151 offset0:108 offset1:144
	ds_load_2addr_b64 v[24:27], v84 offset0:32 offset1:59
	;; [unrolled: 1-line block ×6, first 2 shown]
	ds_load_b64 v[80:81], v151 offset:3168
	s_and_saveexec_b32 s0, vcc_lo
	s_cbranch_execz .LBB0_23
; %bb.22:
	v_add_nc_u32_e32 v76, 0x400, v151
	ds_load_2addr_b64 v[76:79], v76 offset0:7 offset1:151
	ds_load_b64 v[86:87], v151 offset:3384
.LBB0_23:
	s_wait_alu 0xfffe
	s_or_b32 exec_lo, exec_lo, s0
	s_wait_dscnt 0x5
	v_dual_mul_f32 v82, v37, v7 :: v_dual_mul_f32 v83, v39, v25
	v_mul_f32_e32 v37, v37, v6
	v_mul_f32_e32 v39, v39, v24
	global_wb scope:SCOPE_SE
	s_wait_dscnt 0x0
	v_fmac_f32_e32 v82, v36, v6
	v_mul_f32_e32 v6, v49, v20
	v_fma_f32 v7, v36, v7, -v37
	v_dual_mul_f32 v36, v49, v21 :: v_dual_fmac_f32 v83, v38, v24
	v_fma_f32 v24, v38, v25, -v39
	v_mul_f32_e32 v25, v51, v27
	v_fma_f32 v21, v48, v21, -v6
	s_delay_alu instid0(VALU_DEP_4) | instskip(SKIP_4) | instid1(VALU_DEP_3)
	v_fmac_f32_e32 v36, v48, v20
	v_dual_mul_f32 v20, v51, v26 :: v_dual_mul_f32 v37, v33, v23
	v_mul_f32_e32 v6, v33, v22
	v_fmac_f32_e32 v25, v50, v26
	s_barrier_signal -1
	v_fma_f32 v26, v50, v27, -v20
	v_mul_f32_e32 v20, v35, v16
	v_mul_f32_e32 v27, v35, v17
	v_fmac_f32_e32 v37, v32, v22
	v_fma_f32 v23, v32, v23, -v6
	v_mul_f32_e32 v32, v53, v1
	v_mul_f32_e32 v35, v45, v3
	;; [unrolled: 1-line block ×3, first 2 shown]
	v_fmac_f32_e32 v27, v34, v16
	v_fma_f32 v33, v34, v17, -v20
	v_mul_f32_e32 v34, v55, v19
	v_fmac_f32_e32 v32, v52, v0
	v_dual_mul_f32 v0, v55, v18 :: v_dual_mul_f32 v39, v41, v79
	v_fmac_f32_e32 v35, v44, v2
	v_fma_f32 v1, v52, v1, -v6
	v_mul_f32_e32 v6, v45, v2
	s_delay_alu instid0(VALU_DEP_4) | instskip(SKIP_2) | instid1(VALU_DEP_4)
	v_fma_f32 v0, v54, v19, -v0
	v_dual_sub_f32 v19, v82, v83 :: v_dual_mul_f32 v38, v47, v81
	v_fmac_f32_e32 v39, v40, v78
	v_fma_f32 v3, v44, v3, -v6
	v_mul_f32_e32 v6, v41, v78
	v_dual_fmac_f32 v34, v54, v18 :: v_dual_mul_f32 v41, v43, v87
	v_dual_fmac_f32 v38, v46, v80 :: v_dual_add_f32 v17, v12, v82
	v_mul_f32_e32 v16, v43, v86
	s_delay_alu instid0(VALU_DEP_4) | instskip(SKIP_4) | instid1(VALU_DEP_4)
	v_fma_f32 v40, v40, v79, -v6
	v_add_f32_e32 v6, v82, v83
	v_dual_mul_f32 v2, v47, v80 :: v_dual_fmac_f32 v41, v42, v86
	v_sub_f32_e32 v18, v7, v24
	v_add_f32_e32 v20, v14, v36
	v_fma_f32 v6, -0.5, v6, v12
	v_add_f32_e32 v12, v17, v83
	v_add_f32_e32 v17, v13, v7
	v_fma_f32 v42, v42, v87, -v16
	v_add_f32_e32 v16, v7, v24
	v_fma_f32 v2, v46, v81, -v2
	s_barrier_wait -1
	global_inv scope:SCOPE_SE
	v_fma_f32 v7, -0.5, v16, v13
	v_dual_add_f32 v13, v17, v24 :: v_dual_sub_f32 v24, v36, v25
	s_delay_alu instid0(VALU_DEP_2) | instskip(SKIP_3) | instid1(VALU_DEP_2)
	v_dual_sub_f32 v22, v21, v26 :: v_dual_fmamk_f32 v17, v19, 0x3f5db3d7, v7
	v_fmac_f32_e32 v7, 0xbf5db3d7, v19
	v_dual_add_f32 v19, v21, v26 :: v_dual_fmamk_f32 v16, v18, 0xbf5db3d7, v6
	v_add_f32_e32 v21, v15, v21
	v_dual_fmac_f32 v15, -0.5, v19 :: v_dual_fmac_f32 v6, 0x3f5db3d7, v18
	s_delay_alu instid0(VALU_DEP_2) | instskip(NEXT) | instid1(VALU_DEP_2)
	v_dual_add_f32 v18, v36, v25 :: v_dual_add_f32 v19, v21, v26
	v_dual_sub_f32 v26, v23, v33 :: v_dual_fmamk_f32 v21, v24, 0x3f5db3d7, v15
	v_fmac_f32_e32 v15, 0xbf5db3d7, v24
	s_delay_alu instid0(VALU_DEP_3) | instskip(SKIP_2) | instid1(VALU_DEP_3)
	v_fma_f32 v14, -0.5, v18, v14
	v_add_f32_e32 v24, v23, v33
	v_dual_add_f32 v18, v20, v25 :: v_dual_add_f32 v23, v9, v23
	v_dual_add_f32 v25, v8, v37 :: v_dual_fmamk_f32 v20, v22, 0xbf5db3d7, v14
	s_delay_alu instid0(VALU_DEP_3) | instskip(SKIP_1) | instid1(VALU_DEP_4)
	v_fma_f32 v9, -0.5, v24, v9
	v_fmac_f32_e32 v14, 0x3f5db3d7, v22
	v_dual_add_f32 v22, v37, v27 :: v_dual_add_f32 v23, v23, v33
	v_add_f32_e32 v33, v10, v32
	v_sub_f32_e32 v36, v1, v0
	s_delay_alu instid0(VALU_DEP_3) | instskip(SKIP_2) | instid1(VALU_DEP_1)
	v_fma_f32 v8, -0.5, v22, v8
	v_add_f32_e32 v22, v25, v27
	v_sub_f32_e32 v27, v37, v27
	v_fmamk_f32 v25, v27, 0x3f5db3d7, v9
	v_fmac_f32_e32 v9, 0xbf5db3d7, v27
	v_add_f32_e32 v27, v1, v0
	v_dual_add_f32 v1, v11, v1 :: v_dual_fmamk_f32 v24, v26, 0xbf5db3d7, v8
	v_fmac_f32_e32 v8, 0x3f5db3d7, v26
	ds_store_2addr_b64 v151, v[12:13], v[16:17] offset1:48
	ds_store_b64 v151, v[6:7] offset:768
	ds_store_2addr_b64 v167, v[18:19], v[20:21] offset1:48
	ds_store_b64 v167, v[14:15] offset:768
	ds_store_b64 v151, v[22:23] offset:1200
	v_fmac_f32_e32 v11, -0.5, v27
	v_dual_add_f32 v27, v1, v0 :: v_dual_add_f32 v26, v32, v34
	v_dual_add_f32 v1, v4, v35 :: v_dual_add_nc_u32 v6, 0x800, v165
	s_delay_alu instid0(VALU_DEP_2) | instskip(SKIP_2) | instid1(VALU_DEP_3)
	v_fma_f32 v10, -0.5, v26, v10
	v_add_f32_e32 v26, v33, v34
	v_sub_f32_e32 v34, v32, v34
	v_fmamk_f32 v32, v36, 0xbf5db3d7, v10
	v_fmac_f32_e32 v10, 0x3f5db3d7, v36
	s_delay_alu instid0(VALU_DEP_3) | instskip(SKIP_3) | instid1(VALU_DEP_4)
	v_dual_add_f32 v36, v3, v2 :: v_dual_fmamk_f32 v33, v34, 0x3f5db3d7, v11
	v_fmac_f32_e32 v11, 0xbf5db3d7, v34
	v_add_f32_e32 v34, v1, v38
	v_add_f32_e32 v1, v5, v3
	v_dual_fmac_f32 v5, -0.5, v36 :: v_dual_add_f32 v0, v35, v38
	s_delay_alu instid0(VALU_DEP_1)
	v_fma_f32 v4, -0.5, v0, v4
	v_sub_f32_e32 v0, v3, v2
	v_sub_f32_e32 v3, v35, v38
	v_add_f32_e32 v35, v1, v2
	v_add_f32_e32 v1, v40, v42
	;; [unrolled: 1-line block ×3, first 2 shown]
	v_fmamk_f32 v36, v0, 0xbf5db3d7, v4
	v_fmac_f32_e32 v4, 0x3f5db3d7, v0
	v_add_f32_e32 v0, v39, v41
	v_fmamk_f32 v37, v3, 0x3f5db3d7, v5
	v_fmac_f32_e32 v5, 0xbf5db3d7, v3
	v_sub_f32_e32 v3, v40, v42
	v_dual_sub_f32 v39, v39, v41 :: v_dual_add_f32 v38, v77, v40
	v_dual_fmac_f32 v76, -0.5, v0 :: v_dual_fmac_f32 v77, -0.5, v1
	v_add_f32_e32 v0, v2, v41
	ds_store_b64 v164, v[24:25] offset:1536
	ds_store_b64 v151, v[8:9] offset:1968
	ds_store_2addr_b64 v166, v[26:27], v[32:33] offset1:48
	ds_store_b64 v166, v[10:11] offset:768
	ds_store_2addr_b64 v6, v[34:35], v[36:37] offset0:32 offset1:80
	ds_store_b64 v165, v[4:5] offset:3072
	v_dual_add_f32 v1, v38, v42 :: v_dual_fmamk_f32 v2, v3, 0xbf5db3d7, v76
	v_dual_fmac_f32 v76, 0x3f5db3d7, v3 :: v_dual_fmamk_f32 v3, v39, 0x3f5db3d7, v77
	v_fmac_f32_e32 v77, 0xbf5db3d7, v39
	s_and_saveexec_b32 s0, vcc_lo
	s_cbranch_execz .LBB0_25
; %bb.24:
	v_lshl_add_u32 v4, v156, 3, v154
	s_delay_alu instid0(VALU_DEP_1)
	v_add_nc_u32_e32 v5, 0x800, v4
	ds_store_2addr_b64 v5, v[0:1], v[2:3] offset0:32 offset1:80
	ds_store_b64 v4, v[76:77] offset:3072
.LBB0_25:
	s_wait_alu 0xfffe
	s_or_b32 exec_lo, exec_lo, s0
	v_add_nc_u32_e32 v38, 0x800, v151
	global_wb scope:SCOPE_SE
	s_wait_dscnt 0x0
	s_barrier_signal -1
	s_barrier_wait -1
	global_inv scope:SCOPE_SE
	ds_load_2addr_b64 v[12:15], v151 offset1:27
	ds_load_2addr_b64 v[4:7], v151 offset0:108 offset1:144
	ds_load_2addr_b64 v[32:35], v38 offset0:32 offset1:59
	;; [unrolled: 1-line block ×6, first 2 shown]
	ds_load_b64 v[36:37], v151 offset:3168
	v_add_nc_u32_e32 v39, 0x360, v149
	s_and_saveexec_b32 s0, vcc_lo
	s_cbranch_execz .LBB0_27
; %bb.26:
	v_add_nc_u32_e32 v0, 0x400, v151
	ds_load_2addr_b64 v[0:3], v0 offset0:7 offset1:151
	ds_load_b64 v[76:77], v151 offset:3384
.LBB0_27:
	s_wait_alu 0xfffe
	s_or_b32 exec_lo, exec_lo, s0
	s_wait_dscnt 0x5
	v_dual_mul_f32 v40, v61, v7 :: v_dual_mul_f32 v43, v63, v32
	v_dual_mul_f32 v41, v61, v6 :: v_dual_mul_f32 v42, v63, v33
	s_delay_alu instid0(VALU_DEP_2) | instskip(NEXT) | instid1(VALU_DEP_2)
	v_fmac_f32_e32 v40, v60, v6
	v_fma_f32 v7, v60, v7, -v41
	s_wait_dscnt 0x4
	s_delay_alu instid0(VALU_DEP_3) | instskip(SKIP_2) | instid1(VALU_DEP_3)
	v_dual_mul_f32 v41, v73, v25 :: v_dual_fmac_f32 v42, v62, v32
	v_fma_f32 v32, v62, v33, -v43
	v_dual_mul_f32 v33, v75, v35 :: v_dual_mul_f32 v6, v73, v24
	v_dual_fmac_f32 v41, v72, v24 :: v_dual_mul_f32 v24, v75, v34
	v_mul_f32_e32 v43, v69, v27
	s_wait_dscnt 0x2
	s_delay_alu instid0(VALU_DEP_3)
	v_dual_fmac_f32 v33, v74, v34 :: v_dual_mul_f32 v34, v71, v21
	v_fma_f32 v25, v72, v25, -v6
	v_fma_f32 v24, v74, v35, -v24
	s_wait_dscnt 0x1
	v_dual_mul_f32 v35, v65, v17 :: v_dual_mul_f32 v44, v67, v23
	v_fmac_f32_e32 v34, v70, v20
	v_mul_f32_e32 v6, v69, v26
	s_delay_alu instid0(VALU_DEP_3)
	v_dual_mul_f32 v46, v57, v19 :: v_dual_fmac_f32 v35, v64, v16
	s_wait_dscnt 0x0
	v_dual_mul_f32 v48, v59, v37 :: v_dual_fmac_f32 v43, v68, v26
	v_mul_f32_e32 v26, v71, v20
	v_fma_f32 v27, v68, v27, -v6
	v_mul_f32_e32 v6, v65, v16
	v_mul_f32_e32 v16, v67, v22
	v_fmac_f32_e32 v46, v56, v18
	v_fma_f32 v26, v70, v21, -v26
	v_sub_f32_e32 v21, v25, v24
	v_fma_f32 v45, v64, v17, -v6
	v_mul_f32_e32 v6, v57, v18
	v_fma_f32 v47, v66, v23, -v16
	v_dual_mul_f32 v16, v59, v36 :: v_dual_sub_f32 v23, v41, v33
	v_add_f32_e32 v17, v12, v40
	s_delay_alu instid0(VALU_DEP_4) | instskip(SKIP_1) | instid1(VALU_DEP_4)
	v_fma_f32 v49, v56, v19, -v6
	v_add_f32_e32 v6, v40, v42
	v_fma_f32 v37, v58, v37, -v16
	v_add_f32_e32 v16, v7, v32
	v_dual_sub_f32 v18, v7, v32 :: v_dual_add_f32 v7, v13, v7
	s_delay_alu instid0(VALU_DEP_4) | instskip(SKIP_1) | instid1(VALU_DEP_4)
	v_fma_f32 v12, -0.5, v6, v12
	v_sub_f32_e32 v19, v40, v42
	v_fma_f32 v13, -0.5, v16, v13
	s_delay_alu instid0(VALU_DEP_4) | instskip(NEXT) | instid1(VALU_DEP_4)
	v_dual_fmac_f32 v44, v66, v22 :: v_dual_add_f32 v7, v7, v32
	v_fmamk_f32 v16, v18, 0xbf5db3d7, v12
	v_sub_f32_e32 v32, v43, v34
	v_fmac_f32_e32 v12, 0x3f5db3d7, v18
	v_add_f32_e32 v18, v41, v33
	v_add_f32_e32 v22, v15, v25
	v_dual_add_f32 v6, v17, v42 :: v_dual_fmamk_f32 v17, v19, 0x3f5db3d7, v13
	v_fmac_f32_e32 v13, 0xbf5db3d7, v19
	v_dual_add_f32 v19, v25, v24 :: v_dual_add_f32 v20, v14, v41
	v_sub_f32_e32 v25, v27, v26
	v_fma_f32 v14, -0.5, v18, v14
	s_delay_alu instid0(VALU_DEP_3) | instskip(SKIP_2) | instid1(VALU_DEP_4)
	v_dual_add_f32 v40, v5, v49 :: v_dual_fmac_f32 v15, -0.5, v19
	v_fmac_f32_e32 v48, v58, v36
	v_add_f32_e32 v18, v20, v33
	v_fmamk_f32 v20, v21, 0xbf5db3d7, v14
	v_dual_fmac_f32 v14, 0x3f5db3d7, v21 :: v_dual_sub_f32 v33, v45, v47
	v_dual_add_f32 v19, v22, v24 :: v_dual_add_f32 v22, v43, v34
	v_fmamk_f32 v21, v23, 0x3f5db3d7, v15
	v_fmac_f32_e32 v15, 0xbf5db3d7, v23
	v_add_f32_e32 v23, v27, v26
	v_add_f32_e32 v27, v9, v27
	;; [unrolled: 1-line block ×3, first 2 shown]
	v_fma_f32 v8, -0.5, v22, v8
	v_sub_f32_e32 v41, v46, v48
	v_fma_f32 v9, -0.5, v23, v9
	v_add_f32_e32 v23, v27, v26
	v_dual_add_f32 v26, v35, v44 :: v_dual_add_f32 v27, v10, v35
	v_add_f32_e32 v36, v4, v46
	ds_store_2addr_b64 v151, v[6:7], v[18:19] offset1:27
	v_add_nc_u32_e32 v7, 0x400, v39
	v_fma_f32 v10, -0.5, v26, v10
	v_add_f32_e32 v26, v27, v44
	v_dual_add_f32 v27, v11, v45 :: v_dual_add_f32 v22, v24, v34
	v_sub_f32_e32 v34, v35, v44
	v_fmamk_f32 v24, v25, 0xbf5db3d7, v8
	v_dual_fmac_f32 v8, 0x3f5db3d7, v25 :: v_dual_fmamk_f32 v25, v32, 0x3f5db3d7, v9
	v_dual_fmac_f32 v9, 0xbf5db3d7, v32 :: v_dual_add_f32 v32, v45, v47
	v_add_f32_e32 v35, v46, v48
	v_add_f32_e32 v27, v27, v47
	s_delay_alu instid0(VALU_DEP_3)
	v_dual_fmac_f32 v11, -0.5, v32 :: v_dual_add_nc_u32 v6, 0x400, v151
	v_fmamk_f32 v32, v33, 0xbf5db3d7, v10
	v_fmac_f32_e32 v10, 0x3f5db3d7, v33
	v_fma_f32 v4, -0.5, v35, v4
	v_sub_f32_e32 v35, v49, v37
	v_fmamk_f32 v33, v34, 0x3f5db3d7, v11
	v_dual_fmac_f32 v11, 0xbf5db3d7, v34 :: v_dual_add_f32 v34, v49, v37
	s_delay_alu instid0(VALU_DEP_1) | instskip(NEXT) | instid1(VALU_DEP_4)
	v_dual_fmac_f32 v5, -0.5, v34 :: v_dual_add_f32 v34, v36, v48
	v_fmamk_f32 v36, v35, 0xbf5db3d7, v4
	v_dual_fmac_f32 v4, 0x3f5db3d7, v35 :: v_dual_add_f32 v35, v40, v37
	s_delay_alu instid0(VALU_DEP_3)
	v_fmamk_f32 v37, v41, 0x3f5db3d7, v5
	v_fmac_f32_e32 v5, 0xbf5db3d7, v41
	ds_store_2addr_b64 v151, v[20:21], v[24:25] offset0:171 offset1:198
	ds_store_2addr_b64 v38, v[14:15], v[8:9] offset0:59 offset1:86
	;; [unrolled: 1-line block ×4, first 2 shown]
	ds_store_b64 v151, v[10:11] offset:2952
	ds_store_2addr_b64 v151, v[34:35], v[16:17] offset0:108 offset1:144
	ds_store_2addr_b64 v7, v[36:37], v[4:5] offset0:16 offset1:160
	s_and_saveexec_b32 s0, vcc_lo
	s_cbranch_execz .LBB0_29
; %bb.28:
	v_dual_mul_f32 v4, v29, v2 :: v_dual_mul_f32 v5, v31, v76
	v_dual_mul_f32 v7, v29, v3 :: v_dual_mul_f32 v8, v31, v77
	s_delay_alu instid0(VALU_DEP_2) | instskip(NEXT) | instid1(VALU_DEP_3)
	v_fma_f32 v3, v28, v3, -v4
	v_fma_f32 v4, v30, v77, -v5
	s_delay_alu instid0(VALU_DEP_3) | instskip(NEXT) | instid1(VALU_DEP_3)
	v_dual_fmac_f32 v7, v28, v2 :: v_dual_fmac_f32 v8, v30, v76
	v_add_f32_e32 v10, v1, v3
	s_delay_alu instid0(VALU_DEP_3) | instskip(SKIP_1) | instid1(VALU_DEP_4)
	v_add_f32_e32 v2, v3, v4
	v_sub_f32_e32 v11, v3, v4
	v_add_f32_e32 v5, v7, v8
	v_sub_f32_e32 v9, v7, v8
	v_add_f32_e32 v7, v0, v7
	v_fma_f32 v1, -0.5, v2, v1
	s_delay_alu instid0(VALU_DEP_4) | instskip(SKIP_1) | instid1(VALU_DEP_3)
	v_fma_f32 v0, -0.5, v5, v0
	v_add_f32_e32 v3, v10, v4
	v_dual_add_f32 v2, v7, v8 :: v_dual_fmamk_f32 v5, v9, 0xbf5db3d7, v1
	s_delay_alu instid0(VALU_DEP_3)
	v_dual_fmac_f32 v1, 0x3f5db3d7, v9 :: v_dual_fmamk_f32 v4, v11, 0x3f5db3d7, v0
	v_fmac_f32_e32 v0, 0xbf5db3d7, v11
	ds_store_2addr_b64 v6, v[2:3], v[0:1] offset0:7 offset1:151
	ds_store_b64 v151, v[4:5] offset:3384
.LBB0_29:
	s_wait_alu 0xfffe
	s_or_b32 exec_lo, exec_lo, s0
	global_wb scope:SCOPE_SE
	s_wait_dscnt 0x0
	s_barrier_signal -1
	s_barrier_wait -1
	global_inv scope:SCOPE_SE
	ds_load_2addr_b64 v[0:3], v151 offset1:27
	ds_load_2addr_b64 v[4:7], v151 offset0:108 offset1:144
	v_add_nc_u32_e32 v16, 0x800, v151
	ds_load_2addr_b64 v[12:15], v151 offset0:171 offset1:198
	v_mad_co_u64_u32 v[20:21], null, s6, v114, 0
	v_mad_co_u64_u32 v[38:39], null, s4, v152, 0
	;; [unrolled: 1-line block ×3, first 2 shown]
	s_mov_b32 s2, 0xbda12f68
	s_mov_b32 s3, 0x3f62f684
	s_mul_u64 s[0:1], s[4:5], 0x90
	s_wait_alu 0xfffe
	s_lshl_b64 s[10:11], s[0:1], 3
	s_mul_i32 s1, s5, 0xfffffc58
	s_wait_dscnt 0x2
	v_mul_f32_e32 v17, v144, v1
	ds_load_2addr_b64 v[8:11], v16 offset0:32 offset1:59
	s_wait_dscnt 0x2
	v_dual_mul_f32 v18, v144, v0 :: v_dual_mul_f32 v19, v146, v7
	v_dual_mul_f32 v22, v146, v6 :: v_dual_fmac_f32 v17, v143, v0
	v_mul_f32_e32 v30, v142, v3
	v_mul_f32_e32 v23, v142, v2
	s_delay_alu instid0(VALU_DEP_4)
	v_fma_f32 v0, v143, v1, -v18
	v_fmac_f32_e32 v19, v145, v6
	v_fma_f32 v1, v145, v7, -v22
	v_fmac_f32_e32 v30, v141, v2
	s_wait_dscnt 0x1
	v_mul_f32_e32 v50, v124, v14
	v_cvt_f64_f32_e32 v[24:25], v0
	v_cvt_f64_f32_e32 v[26:27], v19
	;; [unrolled: 1-line block ×4, first 2 shown]
	s_wait_dscnt 0x0
	v_mul_f32_e32 v6, v140, v9
	v_mul_f32_e32 v7, v140, v8
	v_fma_f32 v2, v141, v3, -v23
	v_cvt_f64_f32_e32 v[22:23], v17
	ds_load_2addr_b64 v[16:19], v16 offset0:86 offset1:113
	v_fmac_f32_e32 v6, v139, v8
	v_fma_f32 v0, v139, v9, -v7
	v_cvt_f64_f32_e32 v[32:33], v2
	v_mul_f32_e32 v49, v124, v15
	v_fma_f32 v15, v123, v15, -v50
	s_delay_alu instid0(VALU_DEP_4) | instskip(SKIP_3) | instid1(VALU_DEP_1)
	v_cvt_f64_f32_e32 v[36:37], v0
	ds_load_2addr_b64 v[0:3], v151 offset0:54 offset1:81
	s_wait_dscnt 0x1
	v_dual_mul_f32 v50, v120, v19 :: v_dual_mul_f32 v53, v122, v5
	v_fmac_f32_e32 v50, v119, v18
	v_mul_f64_e32 v[24:25], s[2:3], v[24:25]
	v_mul_f64_e32 v[26:27], s[2:3], v[26:27]
	;; [unrolled: 1-line block ×4, first 2 shown]
	v_mad_co_u64_u32 v[42:43], null, s7, v114, v[21:22]
	v_mul_f32_e32 v21, v128, v13
	v_cvt_f64_f32_e32 v[34:35], v6
	v_mul_f64_e32 v[22:23], s[2:3], v[22:23]
	v_mad_co_u64_u32 v[43:44], null, s5, v152, v[39:40]
	v_mul_f32_e32 v39, v128, v12
	v_mul_f64_e32 v[32:33], s[2:3], v[32:33]
	v_mul_f64_e32 v[36:37], s[2:3], v[36:37]
	v_mad_co_u64_u32 v[44:45], null, s5, v153, v[41:42]
	s_delay_alu instid0(VALU_DEP_4)
	v_fma_f32 v39, v127, v13, -v39
	ds_load_2addr_b64 v[6:9], v151 offset0:225 offset1:252
	v_fmac_f32_e32 v21, v127, v12
	s_wait_dscnt 0x1
	v_mul_f32_e32 v48, v132, v0
	v_mul_f32_e32 v51, v120, v18
	v_cvt_f64_f32_e32 v[45:46], v39
	v_mov_b32_e32 v41, v44
	v_cvt_f64_f32_e32 v[12:13], v21
	v_mov_b32_e32 v21, v42
	v_dual_mul_f32 v42, v126, v11 :: v_dual_mul_f32 v47, v132, v1
	v_mov_b32_e32 v39, v43
	v_fma_f32 v44, v131, v1, -v48
	s_delay_alu instid0(VALU_DEP_3) | instskip(SKIP_3) | instid1(VALU_DEP_2)
	v_dual_fmac_f32 v42, v125, v10 :: v_dual_fmac_f32 v47, v131, v0
	v_lshlrev_b64_e32 v[0:1], 3, v[20:21]
	s_wait_dscnt 0x0
	v_mul_f32_e32 v55, v134, v8
	v_add_co_u32 v61, s0, s8, v0
	s_wait_alu 0xf1ff
	s_delay_alu instid0(VALU_DEP_3)
	v_add_co_ci_u32_e64 v62, s0, s9, v1, s0
	v_cvt_f64_f32_e32 v[0:1], v42
	v_fma_f32 v55, v133, v9, -v55
	v_mul_f64_e32 v[34:35], s[2:3], v[34:35]
	v_cvt_f32_f64_e32 v22, v[22:23]
	v_cvt_f32_f64_e32 v23, v[24:25]
	;; [unrolled: 1-line block ×5, first 2 shown]
	v_mul_f32_e32 v32, v138, v17
	v_mul_f32_e32 v43, v126, v10
	v_cvt_f32_f64_e32 v29, v[36:37]
	v_fmac_f32_e32 v49, v123, v14
	v_cvt_f32_f64_e32 v26, v[30:31]
	v_fmac_f32_e32 v32, v137, v16
	v_fma_f32 v14, v125, v11, -v43
	s_delay_alu instid0(VALU_DEP_4) | instskip(SKIP_1) | instid1(VALU_DEP_3)
	v_cvt_f64_f32_e32 v[30:31], v49
	v_mul_f64_e32 v[12:13], s[2:3], v[12:13]
	v_cvt_f64_f32_e32 v[42:43], v14
	v_mul_f32_e32 v14, v138, v16
	v_lshlrev_b64_e32 v[20:21], 3, v[38:39]
	v_cvt_f64_f32_e32 v[38:39], v44
	v_mul_f64_e32 v[44:45], s[2:3], v[45:46]
	v_mul_f32_e32 v46, v118, v7
	v_cvt_f64_f32_e32 v[10:11], v47
	v_mul_f32_e32 v33, v130, v3
	v_fma_f32 v16, v137, v17, -v14
	v_cvt_f64_f32_e32 v[14:15], v15
	v_fmac_f32_e32 v46, v117, v6
	v_add_co_u32 v20, s0, v61, v20
	v_fmac_f32_e32 v33, v129, v2
	v_cvt_f64_f32_e32 v[16:17], v16
	s_wait_alu 0xf1ff
	v_add_co_ci_u32_e64 v21, s0, v62, v21, s0
	s_wait_alu 0xfffe
	v_add_co_u32 v47, s0, v20, s10
	v_mul_f64_e32 v[0:1], s[2:3], v[0:1]
	s_wait_alu 0xf1ff
	v_add_co_ci_u32_e64 v48, s0, s11, v21, s0
	v_cvt_f32_f64_e32 v28, v[34:35]
	v_mul_f32_e32 v34, v130, v2
	v_lshlrev_b64_e32 v[40:41], 3, v[40:41]
	s_delay_alu instid0(VALU_DEP_4) | instskip(NEXT) | instid1(VALU_DEP_3)
	v_mad_co_u64_u32 v[59:60], null, 0xfffffc58, s4, v[47:48]
	v_fma_f32 v36, v129, v3, -v34
	ds_load_b64 v[34:35], v151 offset:3168
	v_cvt_f64_f32_e32 v[2:3], v32
	v_mul_f32_e32 v49, v118, v6
	v_add_co_u32 v40, s0, v61, v40
	v_cvt_f64_f32_e32 v[36:37], v36
	s_wait_alu 0xf1ff
	v_add_co_ci_u32_e64 v41, s0, v62, v41, s0
	s_sub_co_i32 s0, s1, s4
	v_mul_f64_e32 v[42:43], s[2:3], v[42:43]
	s_wait_alu 0xfffe
	v_add_nc_u32_e32 v60, s0, v60
	v_cvt_f32_f64_e32 v12, v[12:13]
	v_mul_f64_e32 v[38:39], s[2:3], v[38:39]
	v_cvt_f32_f64_e32 v13, v[44:45]
	s_clause 0x3
	global_store_b64 v[20:21], v[22:23], off
	global_store_b64 v[47:48], v[24:25], off
	;; [unrolled: 1-line block ×4, first 2 shown]
	s_wait_dscnt 0x0
	v_dual_mul_f32 v56, v136, v35 :: v_dual_fmac_f32 v53, v121, v4
	v_mul_f32_e32 v4, v122, v4
	v_fma_f32 v49, v117, v7, -v49
	v_cvt_f64_f32_e32 v[6:7], v46
	s_delay_alu instid0(VALU_DEP_4) | instskip(SKIP_4) | instid1(VALU_DEP_4)
	v_fmac_f32_e32 v56, v135, v34
	v_dual_mul_f32 v46, v134, v9 :: v_dual_mul_f32 v57, v136, v34
	v_fma_f32 v51, v119, v19, -v51
	v_fma_f32 v4, v121, v5, -v4
	v_cvt_f64_f32_e32 v[32:33], v33
	v_fmac_f32_e32 v46, v133, v8
	v_fma_f32 v57, v135, v35, -v57
	v_cvt_f64_f32_e32 v[18:19], v49
	v_cvt_f64_f32_e32 v[49:50], v50
	;; [unrolled: 1-line block ×9, first 2 shown]
	v_mul_f64_e32 v[10:11], s[2:3], v[10:11]
	v_mul_f64_e32 v[20:21], s[2:3], v[30:31]
	v_mul_f64_e32 v[14:15], s[2:3], v[14:15]
	v_mul_f64_e32 v[2:3], s[2:3], v[2:3]
	v_mul_f64_e32 v[16:17], s[2:3], v[16:17]
	v_mul_f64_e32 v[24:25], s[2:3], v[36:37]
	v_add_co_u32 v40, s0, v59, s10
	s_wait_alu 0xf1ff
	v_add_co_ci_u32_e64 v41, s0, s11, v60, s0
	v_cvt_f32_f64_e32 v0, v[0:1]
	v_cvt_f32_f64_e32 v1, v[42:43]
	v_add_co_u32 v42, s0, v40, s10
	s_wait_alu 0xf1ff
	v_add_co_ci_u32_e64 v43, s0, s11, v41, s0
	s_movk_i32 s0, 0xfefb
	s_mov_b32 s1, -1
	global_store_b64 v[40:41], v[12:13], off
	s_wait_alu 0xfffe
	s_mul_u64 s[0:1], s[4:5], s[0:1]
	v_mul_f64_e32 v[6:7], s[2:3], v[6:7]
	s_wait_alu 0xfffe
	s_lshl_b64 s[4:5], s[0:1], 3
	v_mul_f64_e32 v[22:23], s[2:3], v[32:33]
	v_mul_f64_e32 v[18:19], s[2:3], v[18:19]
	;; [unrolled: 1-line block ×10, first 2 shown]
	v_cvt_f32_f64_e32 v10, v[10:11]
	v_cvt_f32_f64_e32 v11, v[38:39]
	;; [unrolled: 1-line block ×6, first 2 shown]
	s_wait_alu 0xfffe
	v_add_co_u32 v38, s0, v42, s4
	s_wait_alu 0xf1ff
	v_add_co_ci_u32_e64 v39, s0, s5, v43, s0
	v_cvt_f32_f64_e32 v17, v[24:25]
	s_delay_alu instid0(VALU_DEP_3) | instskip(SKIP_1) | instid1(VALU_DEP_3)
	v_add_co_u32 v14, s0, v38, s10
	s_wait_alu 0xf1ff
	v_add_co_ci_u32_e64 v15, s0, s11, v39, s0
	global_store_b64 v[42:43], v[0:1], off
	v_add_co_u32 v24, s0, v14, s10
	s_wait_alu 0xf1ff
	v_add_co_ci_u32_e64 v25, s0, s11, v15, s0
	v_cvt_f32_f64_e32 v6, v[6:7]
	s_delay_alu instid0(VALU_DEP_3) | instskip(SKIP_1) | instid1(VALU_DEP_3)
	v_add_co_u32 v12, s0, v24, s4
	s_wait_alu 0xf1ff
	v_add_co_ci_u32_e64 v13, s0, s5, v25, s0
	v_cvt_f32_f64_e32 v16, v[22:23]
	v_cvt_f32_f64_e32 v7, v[18:19]
	;; [unrolled: 1-line block ×10, first 2 shown]
	v_add_co_u32 v26, s0, v12, s10
	s_wait_alu 0xf1ff
	v_add_co_ci_u32_e64 v27, s0, s11, v13, s0
	global_store_b64 v[38:39], v[10:11], off
	v_add_co_u32 v10, s0, v26, s10
	s_wait_alu 0xf1ff
	v_add_co_ci_u32_e64 v11, s0, s11, v27, s0
	global_store_b64 v[14:15], v[20:21], off
	;; [unrolled: 4-line block ×3, first 2 shown]
	v_add_co_u32 v2, s0, v14, s10
	s_wait_alu 0xf1ff
	v_add_co_ci_u32_e64 v3, s0, s11, v15, s0
	s_delay_alu instid0(VALU_DEP_2) | instskip(SKIP_1) | instid1(VALU_DEP_2)
	v_add_co_u32 v0, s0, v2, s10
	s_wait_alu 0xf1ff
	v_add_co_ci_u32_e64 v1, s0, s11, v3, s0
	global_store_b64 v[12:13], v[16:17], off
	global_store_b64 v[26:27], v[6:7], off
	;; [unrolled: 1-line block ×6, first 2 shown]
	s_and_b32 exec_lo, exec_lo, vcc_lo
	s_cbranch_execz .LBB0_31
; %bb.30:
	global_load_b64 v[6:7], v[115:116], off offset:1080
	v_add_nc_u32_e32 v2, 0x400, v151
	v_add_co_u32 v0, vcc_lo, v0, s4
	s_wait_alu 0xfffd
	v_add_co_ci_u32_e32 v1, vcc_lo, s5, v1, vcc_lo
	ds_load_2addr_b64 v[2:5], v2 offset0:7 offset1:151
	s_wait_loadcnt_dscnt 0x0
	v_mul_f32_e32 v8, v3, v7
	v_mul_f32_e32 v7, v2, v7
	s_delay_alu instid0(VALU_DEP_2) | instskip(NEXT) | instid1(VALU_DEP_2)
	v_fmac_f32_e32 v8, v2, v6
	v_fma_f32 v6, v6, v3, -v7
	s_delay_alu instid0(VALU_DEP_2) | instskip(NEXT) | instid1(VALU_DEP_2)
	v_cvt_f64_f32_e32 v[2:3], v8
	v_cvt_f64_f32_e32 v[6:7], v6
	s_delay_alu instid0(VALU_DEP_2) | instskip(NEXT) | instid1(VALU_DEP_2)
	v_mul_f64_e32 v[2:3], s[2:3], v[2:3]
	v_mul_f64_e32 v[6:7], s[2:3], v[6:7]
	s_delay_alu instid0(VALU_DEP_2) | instskip(NEXT) | instid1(VALU_DEP_2)
	v_cvt_f32_f64_e32 v2, v[2:3]
	v_cvt_f32_f64_e32 v3, v[6:7]
	global_store_b64 v[0:1], v[2:3], off
	global_load_b64 v[2:3], v[115:116], off offset:2232
	v_add_co_u32 v0, vcc_lo, v0, s10
	s_wait_alu 0xfffd
	v_add_co_ci_u32_e32 v1, vcc_lo, s11, v1, vcc_lo
	s_wait_loadcnt 0x0
	v_mul_f32_e32 v6, v5, v3
	v_mul_f32_e32 v3, v4, v3
	s_delay_alu instid0(VALU_DEP_2) | instskip(NEXT) | instid1(VALU_DEP_2)
	v_fmac_f32_e32 v6, v4, v2
	v_fma_f32 v4, v2, v5, -v3
	s_delay_alu instid0(VALU_DEP_2) | instskip(NEXT) | instid1(VALU_DEP_2)
	v_cvt_f64_f32_e32 v[2:3], v6
	v_cvt_f64_f32_e32 v[4:5], v4
	s_delay_alu instid0(VALU_DEP_2) | instskip(NEXT) | instid1(VALU_DEP_2)
	v_mul_f64_e32 v[2:3], s[2:3], v[2:3]
	v_mul_f64_e32 v[4:5], s[2:3], v[4:5]
	s_delay_alu instid0(VALU_DEP_2) | instskip(NEXT) | instid1(VALU_DEP_2)
	v_cvt_f32_f64_e32 v2, v[2:3]
	v_cvt_f32_f64_e32 v3, v[4:5]
	ds_load_b64 v[4:5], v151 offset:3384
	global_store_b64 v[0:1], v[2:3], off
	global_load_b64 v[2:3], v[115:116], off offset:3384
	v_add_co_u32 v0, vcc_lo, v0, s10
	s_wait_alu 0xfffd
	v_add_co_ci_u32_e32 v1, vcc_lo, s11, v1, vcc_lo
	s_wait_loadcnt_dscnt 0x0
	v_mul_f32_e32 v6, v5, v3
	v_mul_f32_e32 v3, v4, v3
	s_delay_alu instid0(VALU_DEP_2) | instskip(NEXT) | instid1(VALU_DEP_2)
	v_fmac_f32_e32 v6, v4, v2
	v_fma_f32 v4, v2, v5, -v3
	s_delay_alu instid0(VALU_DEP_2) | instskip(NEXT) | instid1(VALU_DEP_2)
	v_cvt_f64_f32_e32 v[2:3], v6
	v_cvt_f64_f32_e32 v[4:5], v4
	s_delay_alu instid0(VALU_DEP_2) | instskip(NEXT) | instid1(VALU_DEP_2)
	v_mul_f64_e32 v[2:3], s[2:3], v[2:3]
	v_mul_f64_e32 v[4:5], s[2:3], v[4:5]
	s_delay_alu instid0(VALU_DEP_2) | instskip(NEXT) | instid1(VALU_DEP_2)
	v_cvt_f32_f64_e32 v2, v[2:3]
	v_cvt_f32_f64_e32 v3, v[4:5]
	global_store_b64 v[0:1], v[2:3], off
.LBB0_31:
	s_nop 0
	s_sendmsg sendmsg(MSG_DEALLOC_VGPRS)
	s_endpgm
	.section	.rodata,"a",@progbits
	.p2align	6, 0x0
	.amdhsa_kernel bluestein_single_fwd_len432_dim1_sp_op_CI_CI
		.amdhsa_group_segment_fixed_size 6912
		.amdhsa_private_segment_fixed_size 0
		.amdhsa_kernarg_size 104
		.amdhsa_user_sgpr_count 2
		.amdhsa_user_sgpr_dispatch_ptr 0
		.amdhsa_user_sgpr_queue_ptr 0
		.amdhsa_user_sgpr_kernarg_segment_ptr 1
		.amdhsa_user_sgpr_dispatch_id 0
		.amdhsa_user_sgpr_private_segment_size 0
		.amdhsa_wavefront_size32 1
		.amdhsa_uses_dynamic_stack 0
		.amdhsa_enable_private_segment 0
		.amdhsa_system_sgpr_workgroup_id_x 1
		.amdhsa_system_sgpr_workgroup_id_y 0
		.amdhsa_system_sgpr_workgroup_id_z 0
		.amdhsa_system_sgpr_workgroup_info 0
		.amdhsa_system_vgpr_workitem_id 0
		.amdhsa_next_free_vgpr 210
		.amdhsa_next_free_sgpr 18
		.amdhsa_reserve_vcc 1
		.amdhsa_float_round_mode_32 0
		.amdhsa_float_round_mode_16_64 0
		.amdhsa_float_denorm_mode_32 3
		.amdhsa_float_denorm_mode_16_64 3
		.amdhsa_fp16_overflow 0
		.amdhsa_workgroup_processor_mode 1
		.amdhsa_memory_ordered 1
		.amdhsa_forward_progress 0
		.amdhsa_round_robin_scheduling 0
		.amdhsa_exception_fp_ieee_invalid_op 0
		.amdhsa_exception_fp_denorm_src 0
		.amdhsa_exception_fp_ieee_div_zero 0
		.amdhsa_exception_fp_ieee_overflow 0
		.amdhsa_exception_fp_ieee_underflow 0
		.amdhsa_exception_fp_ieee_inexact 0
		.amdhsa_exception_int_div_zero 0
	.end_amdhsa_kernel
	.text
.Lfunc_end0:
	.size	bluestein_single_fwd_len432_dim1_sp_op_CI_CI, .Lfunc_end0-bluestein_single_fwd_len432_dim1_sp_op_CI_CI
                                        ; -- End function
	.section	.AMDGPU.csdata,"",@progbits
; Kernel info:
; codeLenInByte = 14504
; NumSgprs: 20
; NumVgprs: 210
; ScratchSize: 0
; MemoryBound: 0
; FloatMode: 240
; IeeeMode: 1
; LDSByteSize: 6912 bytes/workgroup (compile time only)
; SGPRBlocks: 2
; VGPRBlocks: 26
; NumSGPRsForWavesPerEU: 20
; NumVGPRsForWavesPerEU: 210
; Occupancy: 7
; WaveLimiterHint : 1
; COMPUTE_PGM_RSRC2:SCRATCH_EN: 0
; COMPUTE_PGM_RSRC2:USER_SGPR: 2
; COMPUTE_PGM_RSRC2:TRAP_HANDLER: 0
; COMPUTE_PGM_RSRC2:TGID_X_EN: 1
; COMPUTE_PGM_RSRC2:TGID_Y_EN: 0
; COMPUTE_PGM_RSRC2:TGID_Z_EN: 0
; COMPUTE_PGM_RSRC2:TIDIG_COMP_CNT: 0
	.text
	.p2alignl 7, 3214868480
	.fill 96, 4, 3214868480
	.type	__hip_cuid_3743bd017a1e8ee1,@object ; @__hip_cuid_3743bd017a1e8ee1
	.section	.bss,"aw",@nobits
	.globl	__hip_cuid_3743bd017a1e8ee1
__hip_cuid_3743bd017a1e8ee1:
	.byte	0                               ; 0x0
	.size	__hip_cuid_3743bd017a1e8ee1, 1

	.ident	"AMD clang version 19.0.0git (https://github.com/RadeonOpenCompute/llvm-project roc-6.4.0 25133 c7fe45cf4b819c5991fe208aaa96edf142730f1d)"
	.section	".note.GNU-stack","",@progbits
	.addrsig
	.addrsig_sym __hip_cuid_3743bd017a1e8ee1
	.amdgpu_metadata
---
amdhsa.kernels:
  - .args:
      - .actual_access:  read_only
        .address_space:  global
        .offset:         0
        .size:           8
        .value_kind:     global_buffer
      - .actual_access:  read_only
        .address_space:  global
        .offset:         8
        .size:           8
        .value_kind:     global_buffer
      - .actual_access:  read_only
        .address_space:  global
        .offset:         16
        .size:           8
        .value_kind:     global_buffer
      - .actual_access:  read_only
        .address_space:  global
        .offset:         24
        .size:           8
        .value_kind:     global_buffer
      - .actual_access:  read_only
        .address_space:  global
        .offset:         32
        .size:           8
        .value_kind:     global_buffer
      - .offset:         40
        .size:           8
        .value_kind:     by_value
      - .address_space:  global
        .offset:         48
        .size:           8
        .value_kind:     global_buffer
      - .address_space:  global
        .offset:         56
        .size:           8
        .value_kind:     global_buffer
      - .address_space:  global
        .offset:         64
        .size:           8
        .value_kind:     global_buffer
      - .address_space:  global
        .offset:         72
        .size:           8
        .value_kind:     global_buffer
      - .offset:         80
        .size:           4
        .value_kind:     by_value
      - .address_space:  global
        .offset:         88
        .size:           8
        .value_kind:     global_buffer
      - .address_space:  global
        .offset:         96
        .size:           8
        .value_kind:     global_buffer
    .group_segment_fixed_size: 6912
    .kernarg_segment_align: 8
    .kernarg_segment_size: 104
    .language:       OpenCL C
    .language_version:
      - 2
      - 0
    .max_flat_workgroup_size: 54
    .name:           bluestein_single_fwd_len432_dim1_sp_op_CI_CI
    .private_segment_fixed_size: 0
    .sgpr_count:     20
    .sgpr_spill_count: 0
    .symbol:         bluestein_single_fwd_len432_dim1_sp_op_CI_CI.kd
    .uniform_work_group_size: 1
    .uses_dynamic_stack: false
    .vgpr_count:     210
    .vgpr_spill_count: 0
    .wavefront_size: 32
    .workgroup_processor_mode: 1
amdhsa.target:   amdgcn-amd-amdhsa--gfx1201
amdhsa.version:
  - 1
  - 2
...

	.end_amdgpu_metadata
